;; amdgpu-corpus repo=ROCm/rocFFT kind=compiled arch=gfx950 opt=O3
	.text
	.amdgcn_target "amdgcn-amd-amdhsa--gfx950"
	.amdhsa_code_object_version 6
	.protected	bluestein_single_fwd_len110_dim1_sp_op_CI_CI ; -- Begin function bluestein_single_fwd_len110_dim1_sp_op_CI_CI
	.globl	bluestein_single_fwd_len110_dim1_sp_op_CI_CI
	.p2align	8
	.type	bluestein_single_fwd_len110_dim1_sp_op_CI_CI,@function
bluestein_single_fwd_len110_dim1_sp_op_CI_CI: ; @bluestein_single_fwd_len110_dim1_sp_op_CI_CI
; %bb.0:
	s_load_dwordx4 s[16:19], s[0:1], 0x28
	v_mul_u32_u24_e32 v1, 0x1746, v0
	v_lshrrev_b32_e32 v2, 16, v1
	v_mad_u64_u32 v[68:69], s[2:3], s2, 18, v[2:3]
	v_mov_b32_e32 v79, 0
	v_mov_b32_e32 v69, v79
	s_waitcnt lgkmcnt(0)
	v_cmp_gt_u64_e32 vcc, s[16:17], v[68:69]
	s_and_saveexec_b64 s[2:3], vcc
	s_cbranch_execz .LBB0_10
; %bb.1:
	s_load_dwordx4 s[4:7], s[0:1], 0x18
	s_load_dwordx4 s[8:11], s[0:1], 0x0
	v_mul_lo_u16_e32 v1, 11, v2
	v_sub_u16_e32 v69, v0, v1
	v_mov_b32_e32 v4, s18
	s_waitcnt lgkmcnt(0)
	s_load_dwordx4 s[12:15], s[4:5], 0x0
	v_mov_b32_e32 v5, s19
	v_mov_b32_e32 v20, 0x1b8
	;; [unrolled: 1-line block ×3, first 2 shown]
	v_lshlrev_b32_e32 v78, 3, v69
	s_waitcnt lgkmcnt(0)
	v_mad_u64_u32 v[0:1], s[2:3], s14, v68, 0
	v_mov_b32_e32 v2, v1
	v_mad_u64_u32 v[2:3], s[2:3], s15, v68, v[2:3]
	v_mov_b32_e32 v1, v2
	;; [unrolled: 2-line block ×4, first 2 shown]
	v_lshl_add_u64 v[0:1], v[0:1], 3, v[4:5]
	v_lshl_add_u64 v[0:1], v[2:3], 3, v[0:1]
	global_load_dwordx2 v[2:3], v[0:1], off
	v_mad_u64_u32 v[0:1], s[2:3], s12, v20, v[0:1]
	s_mul_i32 s4, s13, 0x1b8
	v_add_u32_e32 v1, s4, v1
	v_mad_u64_u32 v[4:5], s[2:3], s12, v18, v[0:1]
	s_mul_i32 s2, s13, 0xfffffea0
	s_sub_i32 s5, s2, s12
	v_add_u32_e32 v5, s5, v5
	global_load_dwordx2 v[76:77], v78, s[8:9]
	global_load_dwordx2 v[74:75], v78, s[8:9] offset:440
	global_load_dwordx2 v[6:7], v[0:1], off
	global_load_dwordx2 v[8:9], v[4:5], off
	global_load_dwordx2 v[72:73], v78, s[8:9] offset:88
	v_mad_u64_u32 v[0:1], s[2:3], s12, v20, v[4:5]
	v_add_u32_e32 v1, s4, v1
	v_mad_u64_u32 v[4:5], s[2:3], s12, v18, v[0:1]
	v_add_u32_e32 v5, s5, v5
	global_load_dwordx2 v[70:71], v78, s[8:9] offset:528
	global_load_dwordx2 v[10:11], v[0:1], off
	global_load_dwordx2 v[12:13], v[4:5], off
	global_load_dwordx2 v[66:67], v78, s[8:9] offset:176
	v_mad_u64_u32 v[0:1], s[2:3], s12, v20, v[4:5]
	v_add_u32_e32 v1, s4, v1
	global_load_dwordx2 v[4:5], v[0:1], off
	global_load_dwordx2 v[64:65], v78, s[8:9] offset:616
	v_mad_u64_u32 v[0:1], s[2:3], s12, v18, v[0:1]
	v_add_u32_e32 v1, s5, v1
	;; [unrolled: 4-line block ×5, first 2 shown]
	global_load_dwordx2 v[56:57], v78, s[8:9] offset:792
	global_load_dwordx2 v[20:21], v[0:1], off
	s_mov_b32 s2, 0x38e38e39
	v_mul_hi_u32 v0, v68, s2
	v_lshrrev_b32_e32 v0, 2, v0
	v_mul_lo_u32 v0, v0, 18
	v_sub_u32_e32 v0, v68, v0
	v_mul_u32_u24_e32 v0, 0x6e, v0
	v_lshlrev_b32_e32 v143, 3, v0
	v_add_u32_e32 v142, v78, v143
	s_load_dwordx4 s[4:7], s[6:7], 0x0
	v_add_u32_e32 v83, 11, v69
	v_and_b32_e32 v85, 1, v69
	v_lshl_add_u32 v144, v83, 4, v143
	v_lshl_add_u32 v81, v69, 4, v143
	v_and_b32_e32 v87, 1, v83
	s_mov_b32 s12, 0x3f737871
	s_mov_b32 s2, 0x3f167918
	;; [unrolled: 1-line block ×3, first 2 shown]
	s_load_dwordx2 s[0:1], s[0:1], 0x38
	v_cmp_gt_u16_e32 vcc, 10, v69
                                        ; implicit-def: $vgpr96
                                        ; implicit-def: $vgpr98
	s_waitcnt vmcnt(18)
	v_mul_f32_e32 v0, v3, v77
	v_mul_f32_e32 v1, v2, v77
	v_fmac_f32_e32 v0, v2, v76
	v_fma_f32 v1, v3, v76, -v1
	s_waitcnt vmcnt(16)
	v_mul_f32_e32 v2, v7, v75
	v_mul_f32_e32 v3, v6, v75
	v_fmac_f32_e32 v2, v6, v74
	v_fma_f32 v3, v7, v74, -v3
	ds_write_b64 v142, v[2:3] offset:440
	s_waitcnt vmcnt(14)
	v_mul_f32_e32 v2, v9, v73
	v_mul_f32_e32 v3, v8, v73
	v_fmac_f32_e32 v2, v8, v72
	v_fma_f32 v3, v9, v72, -v3
	ds_write2_b64 v142, v[0:1], v[2:3] offset1:11
	s_waitcnt vmcnt(12)
	v_mul_f32_e32 v0, v11, v71
	v_mul_f32_e32 v1, v10, v71
	s_waitcnt vmcnt(8)
	v_mul_f32_e32 v6, v5, v65
	v_mul_f32_e32 v7, v4, v65
	v_fmac_f32_e32 v0, v10, v70
	v_fma_f32 v1, v11, v70, -v1
	v_fmac_f32_e32 v6, v4, v64
	v_fma_f32 v7, v5, v64, -v7
	v_mul_f32_e32 v2, v13, v67
	v_mul_f32_e32 v3, v12, v67
	ds_write2_b64 v142, v[0:1], v[6:7] offset0:66 offset1:77
	s_waitcnt vmcnt(6)
	v_mul_f32_e32 v0, v15, v63
	v_mul_f32_e32 v1, v14, v63
	v_fmac_f32_e32 v2, v12, v66
	v_fma_f32 v3, v13, v66, -v3
	v_fmac_f32_e32 v0, v14, v62
	v_fma_f32 v1, v15, v62, -v1
	ds_write2_b64 v142, v[2:3], v[0:1] offset0:22 offset1:33
	s_waitcnt vmcnt(2)
	v_mul_f32_e32 v2, v19, v59
	v_mul_f32_e32 v3, v18, v59
	v_fmac_f32_e32 v2, v18, v58
	v_fma_f32 v3, v19, v58, -v3
	v_mul_f32_e32 v0, v17, v61
	v_mul_f32_e32 v1, v16, v61
	ds_write_b64 v142, v[2:3] offset:352
	s_waitcnt vmcnt(0)
	v_mul_f32_e32 v2, v21, v57
	v_mul_f32_e32 v3, v20, v57
	v_fmac_f32_e32 v0, v16, v60
	v_fma_f32 v1, v17, v60, -v1
	v_fmac_f32_e32 v2, v20, v56
	v_fma_f32 v3, v21, v56, -v3
	v_lshlrev_b16_e32 v8, 1, v69
	ds_write2_b64 v142, v[0:1], v[2:3] offset0:88 offset1:99
	s_waitcnt lgkmcnt(0)
	s_barrier
	ds_read2_b64 v[0:3], v142 offset1:11
	ds_read2_b64 v[4:7], v142 offset0:66 offset1:77
	v_lshl_add_u32 v145, v8, 3, v143
	ds_read2_b64 v[8:11], v142 offset0:22 offset1:33
	ds_read2_b64 v[12:15], v142 offset0:88 offset1:99
	;; [unrolled: 1-line block ×3, first 2 shown]
	s_waitcnt lgkmcnt(3)
	v_pk_add_f32 v[4:5], v[2:3], v[4:5] neg_lo:[0,1] neg_hi:[0,1]
	s_waitcnt lgkmcnt(0)
	v_pk_add_f32 v[22:23], v[8:9], v[6:7] neg_lo:[0,1] neg_hi:[0,1]
	v_pk_fma_f32 v[2:3], v[2:3], 2.0, v[4:5] op_sel_hi:[1,0,1] neg_lo:[0,0,1] neg_hi:[0,0,1]
	v_pk_fma_f32 v[20:21], v[8:9], 2.0, v[22:23] op_sel_hi:[1,0,1] neg_lo:[0,0,1] neg_hi:[0,0,1]
	v_pk_add_f32 v[8:9], v[10:11], v[12:13] neg_lo:[0,1] neg_hi:[0,1]
	v_pk_add_f32 v[12:13], v[16:17], v[14:15] neg_lo:[0,1] neg_hi:[0,1]
	v_pk_fma_f32 v[6:7], v[10:11], 2.0, v[8:9] op_sel_hi:[1,0,1] neg_lo:[0,0,1] neg_hi:[0,0,1]
	v_pk_fma_f32 v[10:11], v[16:17], 2.0, v[12:13] op_sel_hi:[1,0,1] neg_lo:[0,0,1] neg_hi:[0,0,1]
	v_pk_add_f32 v[16:17], v[0:1], v[18:19] neg_lo:[0,1] neg_hi:[0,1]
	s_barrier
	v_pk_fma_f32 v[14:15], v[0:1], 2.0, v[16:17] op_sel_hi:[1,0,1] neg_lo:[0,0,1] neg_hi:[0,0,1]
	ds_write_b128 v145, v[14:17]
	ds_write_b128 v144, v[2:5]
	ds_write_b128 v81, v[20:23] offset:352
	ds_write_b128 v81, v[6:9] offset:528
	;; [unrolled: 1-line block ×3, first 2 shown]
	v_lshlrev_b32_e32 v8, 5, v85
	s_waitcnt lgkmcnt(0)
	s_barrier
	global_load_dwordx4 v[4:7], v8, s[10:11]
	global_load_dwordx4 v[0:3], v8, s[10:11] offset:16
	v_lshlrev_b32_e32 v16, 5, v87
	global_load_dwordx4 v[8:11], v16, s[10:11]
	global_load_dwordx4 v[12:15], v16, s[10:11] offset:16
	ds_read2_b64 v[16:19], v142 offset0:66 offset1:77
	ds_read2_b64 v[20:23], v142 offset0:22 offset1:33
	;; [unrolled: 1-line block ×4, first 2 shown]
	ds_read2_b64 v[32:35], v142 offset1:11
	s_waitcnt lgkmcnt(0)
	s_barrier
	s_waitcnt vmcnt(3)
	v_mov_b32_e32 v86, v7
	s_waitcnt vmcnt(2)
	v_pk_mul_f32 v[36:37], v[16:17], v[0:1] op_sel:[0,1]
	v_pk_mul_f32 v[38:39], v[20:21], v[4:5] op_sel:[0,1]
	v_mov_b32_e32 v84, v3
	v_pk_fma_f32 v[44:45], v[16:17], v[0:1], v[36:37] op_sel:[0,0,1] op_sel_hi:[1,1,0] neg_lo:[0,0,1] neg_hi:[0,0,1]
	v_pk_fma_f32 v[16:17], v[16:17], v[0:1], v[36:37] op_sel:[0,0,1] op_sel_hi:[1,0,0]
	v_pk_fma_f32 v[36:37], v[20:21], v[4:5], v[38:39] op_sel:[0,0,1] op_sel_hi:[1,1,0] neg_lo:[0,0,1] neg_hi:[0,0,1]
	v_pk_fma_f32 v[20:21], v[20:21], v[4:5], v[38:39] op_sel:[0,0,1] op_sel_hi:[1,0,0]
	v_pk_mul_f32 v[38:39], v[24:25], v[86:87] op_sel_hi:[1,0]
	v_pk_mul_f32 v[40:41], v[28:29], v[84:85] op_sel_hi:[1,0]
	v_mov_b32_e32 v45, v17
	v_mov_b32_e32 v37, v21
	v_pk_fma_f32 v[16:17], v[24:25], v[6:7], v[38:39] op_sel:[0,0,1] op_sel_hi:[1,1,0] neg_lo:[0,0,1] neg_hi:[0,0,1]
	v_pk_fma_f32 v[20:21], v[24:25], v[6:7], v[38:39] op_sel:[0,0,1] op_sel_hi:[1,0,0]
	v_pk_fma_f32 v[24:25], v[28:29], v[2:3], v[40:41] op_sel:[0,0,1] op_sel_hi:[1,1,0] neg_lo:[0,0,1] neg_hi:[0,0,1]
	v_pk_fma_f32 v[28:29], v[28:29], v[2:3], v[40:41] op_sel:[0,0,1] op_sel_hi:[1,0,0]
	v_mov_b32_e32 v17, v21
	v_mov_b32_e32 v25, v29
	v_pk_add_f32 v[20:21], v[16:17], v[36:37] neg_lo:[0,1] neg_hi:[0,1]
	v_pk_add_f32 v[28:29], v[44:45], v[24:25] neg_lo:[0,1] neg_hi:[0,1]
	v_pk_add_f32 v[38:39], v[36:37], v[24:25]
	v_pk_add_f32 v[46:47], v[16:17], v[44:45] neg_lo:[0,1] neg_hi:[0,1]
	v_pk_add_f32 v[48:49], v[36:37], v[24:25] neg_lo:[0,1] neg_hi:[0,1]
	v_pk_add_f32 v[20:21], v[20:21], v[28:29]
	v_pk_fma_f32 v[28:29], v[38:39], 0.5, v[32:33] op_sel_hi:[1,0,1] neg_lo:[1,0,0] neg_hi:[1,0,0]
	v_pk_mul_f32 v[38:39], v[46:47], s[12:13] op_sel_hi:[1,0]
	v_pk_mul_f32 v[40:41], v[48:49], s[2:3] op_sel_hi:[1,0]
	v_pk_add_f32 v[42:43], v[28:29], v[38:39] op_sel:[0,1] op_sel_hi:[1,0] neg_lo:[0,1] neg_hi:[0,1]
	v_pk_add_f32 v[28:29], v[28:29], v[38:39] op_sel:[0,1] op_sel_hi:[1,0]
	v_pk_add_f32 v[38:39], v[42:43], v[40:41] op_sel:[0,1] op_sel_hi:[1,0]
	v_pk_add_f32 v[28:29], v[28:29], v[40:41] op_sel:[0,1] op_sel_hi:[1,0] neg_lo:[0,1] neg_hi:[0,1]
	v_mov_b32_e32 v40, v38
	v_mov_b32_e32 v41, v29
	;; [unrolled: 1-line block ×3, first 2 shown]
	v_pk_fma_f32 v[40:41], v[20:21], s[14:15], v[40:41] op_sel_hi:[1,0,1]
	v_pk_fma_f32 v[42:43], v[20:21], s[14:15], v[28:29] op_sel_hi:[1,0,1]
	s_waitcnt vmcnt(1)
	v_pk_mul_f32 v[20:21], v[22:23], v[8:9] op_sel:[0,1]
	v_mov_b32_e32 v80, v11
	v_pk_fma_f32 v[28:29], v[22:23], v[8:9], v[20:21] op_sel:[0,0,1] op_sel_hi:[1,1,0] neg_lo:[0,0,1] neg_hi:[0,0,1]
	v_pk_fma_f32 v[20:21], v[22:23], v[8:9], v[20:21] op_sel:[0,0,1] op_sel_hi:[1,0,0]
	v_pk_mul_f32 v[22:23], v[26:27], v[80:81] op_sel_hi:[1,0]
	s_waitcnt vmcnt(0)
	v_mov_b32_e32 v82, v15
	v_pk_fma_f32 v[50:51], v[26:27], v[10:11], v[22:23] op_sel:[0,0,1] op_sel_hi:[1,1,0] neg_lo:[0,0,1] neg_hi:[0,0,1]
	v_pk_fma_f32 v[22:23], v[26:27], v[10:11], v[22:23] op_sel:[0,0,1] op_sel_hi:[1,0,0]
	v_pk_mul_f32 v[26:27], v[18:19], v[12:13] op_sel:[0,1]
	v_pk_add_f32 v[38:39], v[24:25], v[44:45] neg_lo:[0,1] neg_hi:[0,1]
	v_pk_fma_f32 v[52:53], v[18:19], v[12:13], v[26:27] op_sel:[0,0,1] op_sel_hi:[1,1,0] neg_lo:[0,0,1] neg_hi:[0,0,1]
	v_pk_fma_f32 v[18:19], v[18:19], v[12:13], v[26:27] op_sel:[0,0,1] op_sel_hi:[1,0,0]
	v_pk_mul_f32 v[26:27], v[30:31], v[82:83] op_sel_hi:[1,0]
	v_mov_b32_e32 v29, v21
	v_pk_fma_f32 v[54:55], v[30:31], v[14:15], v[26:27] op_sel:[0,0,1] op_sel_hi:[1,1,0] neg_lo:[0,0,1] neg_hi:[0,0,1]
	v_pk_fma_f32 v[26:27], v[30:31], v[14:15], v[26:27] op_sel:[0,0,1] op_sel_hi:[1,0,0]
	v_pk_add_f32 v[30:31], v[36:37], v[16:17] neg_lo:[0,1] neg_hi:[0,1]
	v_pk_add_f32 v[36:37], v[32:33], v[36:37]
	v_pk_add_f32 v[30:31], v[30:31], v[38:39]
	;; [unrolled: 1-line block ×5, first 2 shown]
	v_pk_fma_f32 v[16:17], v[16:17], 0.5, v[32:33] op_sel_hi:[1,0,1] neg_lo:[1,0,0] neg_hi:[1,0,0]
	v_pk_mul_f32 v[32:33], v[48:49], s[12:13] op_sel_hi:[1,0]
	v_pk_add_f32 v[36:37], v[36:37], v[24:25]
	v_pk_add_f32 v[38:39], v[16:17], v[32:33] op_sel:[0,1] op_sel_hi:[1,0]
	v_pk_add_f32 v[16:17], v[16:17], v[32:33] op_sel:[0,1] op_sel_hi:[1,0] neg_lo:[0,1] neg_hi:[0,1]
	v_pk_mul_f32 v[32:33], v[46:47], s[2:3] op_sel_hi:[1,0]
	v_mov_b32_e32 v51, v23
	v_pk_add_f32 v[16:17], v[16:17], v[32:33] op_sel:[0,1] op_sel_hi:[1,0] neg_lo:[0,1] neg_hi:[0,1]
	v_pk_add_f32 v[32:33], v[38:39], v[32:33] op_sel:[0,1] op_sel_hi:[1,0]
	v_mov_b32_e32 v25, v17
	v_mov_b32_e32 v24, v32
	v_pk_fma_f32 v[38:39], v[30:31], s[14:15], v[24:25] op_sel_hi:[1,0,1]
	v_mov_b32_e32 v17, v33
	v_pk_add_f32 v[24:25], v[34:35], v[28:29]
	v_mov_b32_e32 v53, v19
	v_mov_b32_e32 v55, v27
	v_pk_fma_f32 v[44:45], v[30:31], s[14:15], v[16:17] op_sel_hi:[1,0,1]
	v_pk_add_f32 v[16:17], v[24:25], v[50:51]
	v_pk_add_f32 v[18:19], v[50:51], v[28:29] neg_lo:[0,1] neg_hi:[0,1]
	v_pk_add_f32 v[20:21], v[52:53], v[54:55] neg_lo:[0,1] neg_hi:[0,1]
	v_pk_add_f32 v[22:23], v[50:51], v[52:53]
	v_pk_add_f32 v[16:17], v[16:17], v[52:53]
	;; [unrolled: 1-line block ×4, first 2 shown]
	v_pk_fma_f32 v[22:23], v[22:23], 0.5, v[34:35] op_sel_hi:[1,0,1] neg_lo:[1,0,0] neg_hi:[1,0,0]
	v_pk_add_f32 v[46:47], v[16:17], v[54:55]
	v_pk_add_f32 v[16:17], v[28:29], v[54:55] neg_lo:[0,1] neg_hi:[0,1]
	v_pk_add_f32 v[24:25], v[28:29], v[50:51] neg_lo:[0,1] neg_hi:[0,1]
	;; [unrolled: 1-line block ×4, first 2 shown]
	v_pk_add_f32 v[24:25], v[24:25], v[28:29]
	v_pk_fma_f32 v[28:29], v[16:17], s[12:13], v[22:23] op_sel:[1,0,0] op_sel_hi:[0,0,1]
	v_pk_fma_f32 v[22:23], v[16:17], s[12:13], v[22:23] op_sel:[1,0,0] op_sel_hi:[0,0,1] neg_lo:[1,0,0] neg_hi:[1,0,0]
	v_pk_fma_f32 v[20:21], v[20:21], 0.5, v[34:35] op_sel_hi:[1,0,1] neg_lo:[1,0,0] neg_hi:[1,0,0]
	v_pk_fma_f32 v[22:23], v[26:27], s[2:3], v[22:23] op_sel:[1,0,0] op_sel_hi:[0,0,1] neg_lo:[1,0,0] neg_hi:[1,0,0]
	v_pk_fma_f32 v[28:29], v[26:27], s[2:3], v[28:29] op_sel:[1,0,0] op_sel_hi:[0,0,1]
	v_mov_b32_e32 v30, v28
	v_mov_b32_e32 v31, v23
	;; [unrolled: 1-line block ×3, first 2 shown]
	v_pk_fma_f32 v[28:29], v[26:27], s[12:13], v[20:21] op_sel:[1,0,0] op_sel_hi:[0,0,1] neg_lo:[1,0,0] neg_hi:[1,0,0]
	v_pk_fma_f32 v[20:21], v[26:27], s[12:13], v[20:21] op_sel:[1,0,0] op_sel_hi:[0,0,1]
	v_lshrrev_b32_e32 v3, 1, v69
	v_lshrrev_b32_e32 v7, 1, v83
	v_pk_fma_f32 v[20:21], v[16:17], s[2:3], v[20:21] op_sel:[1,0,0] op_sel_hi:[0,0,1] neg_lo:[1,0,0] neg_hi:[1,0,0]
	v_pk_fma_f32 v[16:17], v[16:17], s[2:3], v[28:29] op_sel:[1,0,0] op_sel_hi:[0,0,1]
	v_mul_u32_u24_e32 v3, 10, v3
	v_mul_u32_u24_e32 v7, 10, v7
	v_mov_b32_e32 v26, v16
	v_mov_b32_e32 v27, v21
	;; [unrolled: 1-line block ×3, first 2 shown]
	v_or_b32_e32 v3, v3, v85
	v_or_b32_e32 v7, v7, v87
	v_pk_fma_f32 v[48:49], v[24:25], s[14:15], v[30:31] op_sel_hi:[1,0,1]
	v_pk_fma_f32 v[50:51], v[18:19], s[14:15], v[26:27] op_sel_hi:[1,0,1]
	;; [unrolled: 1-line block ×4, first 2 shown]
	v_lshl_add_u32 v146, v3, 3, v143
	v_lshl_add_u32 v147, v7, 3, v143
	v_mov_b32_e32 v94, v5
	v_mov_b32_e32 v92, v1
	;; [unrolled: 1-line block ×4, first 2 shown]
	ds_write2_b64 v146, v[36:37], v[38:39] offset1:2
	ds_write2_b64 v146, v[40:41], v[42:43] offset0:4 offset1:6
	ds_write_b64 v146, v[44:45] offset:64
	ds_write2_b64 v147, v[46:47], v[48:49] offset1:2
	ds_write2_b64 v147, v[50:51], v[52:53] offset0:4 offset1:6
	ds_write_b64 v147, v[54:55] offset:64
	s_waitcnt lgkmcnt(0)
	s_barrier
	s_and_saveexec_b64 s[2:3], vcc
	s_cbranch_execz .LBB0_3
; %bb.2:
	ds_read2_b64 v[36:39], v142 offset1:10
	ds_read2_b64 v[40:43], v142 offset0:20 offset1:30
	ds_read2_b64 v[44:47], v142 offset0:40 offset1:50
	;; [unrolled: 1-line block ×3, first 2 shown]
	ds_read_b64 v[96:97], v142 offset:800
	ds_read2_b64 v[52:55], v142 offset0:80 offset1:90
	s_waitcnt lgkmcnt(1)
	v_mov_b32_e32 v98, v97
.LBB0_3:
	s_or_b64 exec, exec, s[2:3]
	v_add_u32_e32 v1, -10, v69
	v_cndmask_b32_e32 v1, v1, v69, vcc
	v_mul_hi_i32_i24_e32 v17, 0x50, v1
	v_mul_i32_i24_e32 v16, 0x50, v1
	v_lshl_add_u64 v[100:101], s[10:11], 0, v[16:17]
	global_load_dwordx4 v[16:19], v[100:101], off offset:64
	global_load_dwordx4 v[24:27], v[100:101], off offset:80
	;; [unrolled: 1-line block ×5, first 2 shown]
	s_mov_b32 s14, 0xbf0a6770
	s_mov_b32 s2, 0x3f575c64
	;; [unrolled: 1-line block ×10, first 2 shown]
	v_mov_b32_e32 v7, v6
	v_mov_b32_e32 v87, v86
	v_mov_b32_e32 v1, v0
	v_mov_b32_e32 v93, v92
	v_mov_b32_e32 v3, v2
	v_mov_b32_e32 v85, v84
	v_mov_b32_e32 v5, v4
	v_mov_b32_e32 v95, v94
	v_mov_b32_e32 v9, v8
	v_mov_b32_e32 v91, v90
	v_mov_b32_e32 v11, v10
	v_mov_b32_e32 v13, v12
	v_mov_b32_e32 v89, v88
	v_mov_b32_e32 v15, v14
	v_mov_b32_e32 v83, v82
	s_waitcnt vmcnt(4)
	v_pk_mul_f32 v[100:101], v[40:41], v[18:19] op_sel:[1,0]
	s_waitcnt vmcnt(3)
	v_pk_mul_f32 v[102:103], v[42:43], v[24:25] op_sel:[1,0]
	v_pk_mul_f32 v[104:105], v[44:45], v[26:27] op_sel:[1,0]
	s_waitcnt vmcnt(2)
	v_pk_mul_f32 v[106:107], v[46:47], v[20:21] op_sel:[1,0]
	;; [unrolled: 3-line block ×3, first 2 shown]
	s_waitcnt lgkmcnt(0)
	v_pk_mul_f32 v[112:113], v[52:53], v[30:31] op_sel:[1,0]
	s_waitcnt vmcnt(0)
	v_pk_mul_f32 v[114:115], v[54:55], v[32:33] op_sel:[1,0]
	v_pk_mul_f32 v[116:117], v[98:99], v[34:35] op_sel_hi:[0,1]
	v_pk_mul_f32 v[118:119], v[38:39], v[16:17] op_sel:[1,0]
	v_pk_fma_f32 v[98:99], v[40:41], v[18:19], v[100:101] op_sel:[0,0,1] op_sel_hi:[1,1,0] neg_lo:[0,0,1] neg_hi:[0,0,1]
	v_pk_fma_f32 v[40:41], v[40:41], v[18:19], v[100:101] op_sel:[0,0,1] op_sel_hi:[0,1,0]
	v_pk_fma_f32 v[100:101], v[42:43], v[24:25], v[102:103] op_sel:[0,0,1] op_sel_hi:[1,1,0] neg_lo:[0,0,1] neg_hi:[0,0,1]
	v_pk_fma_f32 v[42:43], v[42:43], v[24:25], v[102:103] op_sel:[0,0,1] op_sel_hi:[0,1,0]
	;; [unrolled: 2-line block ×10, first 2 shown]
	v_mov_b32_e32 v97, v39
	v_mov_b32_e32 v55, v117
	;; [unrolled: 1-line block ×5, first 2 shown]
	v_pk_add_f32 v[112:113], v[96:97], v[54:55] neg_lo:[0,1] neg_hi:[0,1]
	v_mov_b32_e32 v101, v43
	v_mov_b32_e32 v107, v49
	v_pk_add_f32 v[48:49], v[96:97], v[54:55]
	v_pk_add_f32 v[114:115], v[98:99], v[52:53] neg_lo:[0,1] neg_hi:[0,1]
	v_pk_mul_f32 v[38:39], v[112:113], s[14:15] op_sel:[1,0] op_sel_hi:[0,0]
	v_mov_b32_e32 v103, v45
	v_mov_b32_e32 v105, v47
	;; [unrolled: 1-line block ×3, first 2 shown]
	v_pk_add_f32 v[46:47], v[98:99], v[52:53]
	v_pk_add_f32 v[116:117], v[100:101], v[110:111] neg_lo:[0,1] neg_hi:[0,1]
	v_pk_mul_f32 v[40:41], v[114:115], s[28:29] op_sel:[1,0] op_sel_hi:[0,0]
	v_pk_fma_f32 v[132:133], v[48:49], s[2:3], v[38:39] op_sel_hi:[1,0,1]
	v_pk_fma_f32 v[134:135], v[48:49], s[2:3], v[38:39] op_sel_hi:[1,0,1] neg_lo:[0,0,1] neg_hi:[0,0,1]
	v_pk_add_f32 v[44:45], v[100:101], v[110:111]
	v_pk_add_f32 v[118:119], v[102:103], v[108:109] neg_lo:[0,1] neg_hi:[0,1]
	v_pk_mul_f32 v[120:121], v[116:117], s[18:19] op_sel:[1,0] op_sel_hi:[0,0]
	v_pk_fma_f32 v[128:129], v[46:47], s[10:11], v[40:41] op_sel_hi:[1,0,1]
	v_pk_fma_f32 v[130:131], v[46:47], s[10:11], v[40:41] op_sel_hi:[1,0,1] neg_lo:[0,0,1] neg_hi:[0,0,1]
	v_mov_b32_e32 v38, v132
	v_mov_b32_e32 v39, v135
	v_pk_add_f32 v[42:43], v[102:103], v[108:109]
	v_pk_add_f32 v[136:137], v[104:105], v[106:107] neg_lo:[0,1] neg_hi:[0,1]
	v_pk_mul_f32 v[122:123], v[118:119], s[20:21] op_sel:[1,0] op_sel_hi:[0,0]
	v_pk_fma_f32 v[124:125], v[44:45], s[12:13], v[120:121] op_sel_hi:[1,0,1]
	v_pk_fma_f32 v[126:127], v[44:45], s[12:13], v[120:121] op_sel_hi:[1,0,1] neg_lo:[0,0,1] neg_hi:[0,0,1]
	v_mov_b32_e32 v40, v128
	v_mov_b32_e32 v41, v131
	v_pk_add_f32 v[38:39], v[36:37], v[38:39]
	v_pk_add_f32 v[50:51], v[104:105], v[106:107]
	v_pk_mul_f32 v[140:141], v[136:137], s[24:25] op_sel:[1,0] op_sel_hi:[0,0]
	v_pk_fma_f32 v[120:121], v[42:43], s[16:17], v[122:123] op_sel_hi:[1,0,1]
	v_pk_fma_f32 v[122:123], v[42:43], s[16:17], v[122:123] op_sel_hi:[1,0,1] neg_lo:[0,0,1] neg_hi:[0,0,1]
	v_mov_b32_e32 v138, v124
	v_mov_b32_e32 v139, v127
	v_pk_add_f32 v[38:39], v[40:41], v[38:39]
	v_mov_b32_e32 v148, v120
	v_mov_b32_e32 v149, v123
	v_pk_add_f32 v[38:39], v[138:139], v[38:39]
	v_pk_fma_f32 v[138:139], v[50:51], s[22:23], v[140:141] op_sel_hi:[1,0,1]
	v_pk_fma_f32 v[140:141], v[50:51], s[22:23], v[140:141] op_sel_hi:[1,0,1] neg_lo:[0,0,1] neg_hi:[0,0,1]
	v_pk_add_f32 v[38:39], v[148:149], v[38:39]
	v_mov_b32_e32 v40, v138
	v_mov_b32_e32 v41, v141
	v_pk_add_f32 v[40:41], v[40:41], v[38:39]
	v_add_u32_e32 v128, 0x160, v81
	v_add_u32_e32 v124, 0x210, v81
	;; [unrolled: 1-line block ×3, first 2 shown]
	v_mov_b32_e32 v81, v80
	v_lshl_add_u64 v[38:39], s[8:9], 0, v[78:79]
	s_and_saveexec_b64 s[26:27], vcc
	s_cbranch_execz .LBB0_5
; %bb.4:
	v_pk_add_f32 v[96:97], v[36:37], v[96:97]
	v_mov_b32_e32 v148, v113
	v_pk_add_f32 v[96:97], v[96:97], v[98:99]
	v_mov_b32_e32 v149, v112
	;; [unrolled: 2-line block ×4, first 2 shown]
	v_pk_add_f32 v[96:97], v[96:97], v[104:105]
	v_pk_mul_f32 v[100:101], v[112:113], s[20:21] op_sel_hi:[1,0]
	v_pk_add_f32 v[96:97], v[96:97], v[106:107]
	v_pk_fma_f32 v[102:103], v[46:47], s[16:17], v[100:101] op_sel_hi:[1,0,1] neg_lo:[0,0,1] neg_hi:[0,0,1]
	v_pk_add_f32 v[96:97], v[96:97], v[108:109]
	v_pk_fma_f32 v[100:101], v[46:47], s[16:17], v[100:101] op_sel_hi:[1,0,1]
	v_pk_add_f32 v[96:97], v[96:97], v[110:111]
	v_mov_b32_e32 v114, v117
	v_pk_add_f32 v[52:53], v[96:97], v[52:53]
	v_mov_b32_e32 v115, v116
	v_pk_add_f32 v[52:53], v[52:53], v[54:55]
	v_pk_mul_f32 v[54:55], v[148:149], s[28:29] op_sel_hi:[1,0]
	v_mov_b32_e32 v104, v102
	v_pk_fma_f32 v[96:97], v[48:49], s[10:11], v[54:55] op_sel_hi:[1,0,1] neg_lo:[0,0,1] neg_hi:[0,0,1]
	v_pk_fma_f32 v[54:55], v[48:49], s[10:11], v[54:55] op_sel_hi:[1,0,1]
	v_mov_b32_e32 v98, v96
	v_mov_b32_e32 v99, v55
	v_pk_add_f32 v[98:99], v[36:37], v[98:99]
	v_mov_b32_e32 v105, v101
	s_mov_b32 s28, 0x3e903f40
	v_pk_add_f32 v[98:99], v[104:105], v[98:99]
	v_pk_mul_f32 v[104:105], v[114:115], s[28:29] op_sel_hi:[1,0]
	v_mov_b32_e32 v135, v133
	v_pk_fma_f32 v[106:107], v[44:45], s[22:23], v[104:105] op_sel_hi:[1,0,1] neg_lo:[0,0,1] neg_hi:[0,0,1]
	v_pk_fma_f32 v[104:105], v[44:45], s[22:23], v[104:105] op_sel_hi:[1,0,1]
	v_mov_b32_e32 v116, v119
	v_mov_b32_e32 v117, v118
	ds_write_b64 v142, v[52:53]
	v_pk_add_f32 v[52:53], v[36:37], v[134:135]
	v_mov_b32_e32 v131, v129
	v_mov_b32_e32 v108, v106
	;; [unrolled: 1-line block ×3, first 2 shown]
	s_mov_b32 s30, 0x3f7d64f0
	v_pk_add_f32 v[52:53], v[130:131], v[52:53]
	v_mov_b32_e32 v127, v125
	v_pk_add_f32 v[98:99], v[108:109], v[98:99]
	v_pk_mul_f32 v[108:109], v[116:117], s[30:31] op_sel_hi:[1,0]
	v_pk_add_f32 v[52:53], v[126:127], v[52:53]
	v_mov_b32_e32 v123, v121
	v_pk_fma_f32 v[110:111], v[42:43], s[12:13], v[108:109] op_sel_hi:[1,0,1] neg_lo:[0,0,1] neg_hi:[0,0,1]
	v_pk_fma_f32 v[108:109], v[42:43], s[12:13], v[108:109] op_sel_hi:[1,0,1]
	v_mov_b32_e32 v118, v137
	v_mov_b32_e32 v119, v136
	v_pk_add_f32 v[52:53], v[122:123], v[52:53]
	v_mov_b32_e32 v122, v110
	v_mov_b32_e32 v123, v109
	s_mov_b32 s34, 0x3f0a6770
	v_pk_add_f32 v[98:99], v[122:123], v[98:99]
	v_pk_mul_f32 v[122:123], v[118:119], s[34:35] op_sel_hi:[1,0]
	v_mov_b32_e32 v141, v139
	v_pk_fma_f32 v[126:127], v[50:51], s[2:3], v[122:123] op_sel_hi:[1,0,1] neg_lo:[0,0,1] neg_hi:[0,0,1]
	v_pk_fma_f32 v[122:123], v[50:51], s[2:3], v[122:123] op_sel_hi:[1,0,1]
	v_mov_b32_e32 v130, v126
	v_mov_b32_e32 v131, v123
	v_lshl_add_u32 v79, v69, 3, v143
	v_pk_add_f32 v[52:53], v[140:141], v[52:53]
	v_pk_add_f32 v[98:99], v[130:131], v[98:99]
	ds_write2_b64 v79, v[52:53], v[98:99] offset0:10 offset1:20
	v_pk_mul_f32 v[52:53], v[148:149], s[18:19] op_sel_hi:[1,0]
	v_pk_mul_f32 v[98:99], v[112:113], s[28:29] op_sel_hi:[1,0]
	v_pk_fma_f32 v[136:137], v[48:49], s[12:13], v[52:53] op_sel_hi:[1,0,1] neg_lo:[0,0,1] neg_hi:[0,0,1]
	v_pk_fma_f32 v[52:53], v[48:49], s[12:13], v[52:53] op_sel_hi:[1,0,1]
	s_mov_b32 s28, 0x3f68dda4
	v_mov_b32_e32 v138, v136
	v_mov_b32_e32 v139, v53
	v_pk_fma_f32 v[140:141], v[46:47], s[22:23], v[98:99] op_sel_hi:[1,0,1] neg_lo:[0,0,1] neg_hi:[0,0,1]
	v_pk_fma_f32 v[98:99], v[46:47], s[22:23], v[98:99] op_sel_hi:[1,0,1]
	v_pk_mul_f32 v[130:131], v[114:115], s[28:29] op_sel_hi:[1,0]
	v_pk_add_f32 v[138:139], v[36:37], v[138:139]
	v_mov_b32_e32 v150, v140
	v_mov_b32_e32 v151, v99
	v_pk_add_f32 v[138:139], v[150:151], v[138:139]
	v_pk_fma_f32 v[150:151], v[44:45], s[10:11], v[130:131] op_sel_hi:[1,0,1] neg_lo:[0,0,1] neg_hi:[0,0,1]
	v_pk_fma_f32 v[130:131], v[44:45], s[10:11], v[130:131] op_sel_hi:[1,0,1]
	v_pk_mul_f32 v[132:133], v[116:117], s[14:15] op_sel_hi:[1,0]
	v_mov_b32_e32 v152, v150
	v_mov_b32_e32 v153, v131
	v_pk_add_f32 v[138:139], v[152:153], v[138:139]
	v_pk_fma_f32 v[152:153], v[42:43], s[2:3], v[132:133] op_sel_hi:[1,0,1] neg_lo:[0,0,1] neg_hi:[0,0,1]
	v_pk_fma_f32 v[132:133], v[42:43], s[2:3], v[132:133] op_sel_hi:[1,0,1]
	v_pk_mul_f32 v[134:135], v[118:119], s[20:21] op_sel_hi:[1,0]
	v_mov_b32_e32 v154, v152
	v_mov_b32_e32 v155, v133
	v_pk_add_f32 v[138:139], v[154:155], v[138:139]
	v_pk_fma_f32 v[154:155], v[50:51], s[16:17], v[134:135] op_sel_hi:[1,0,1] neg_lo:[0,0,1] neg_hi:[0,0,1]
	v_pk_fma_f32 v[134:135], v[50:51], s[16:17], v[134:135] op_sel_hi:[1,0,1]
	v_mov_b32_e32 v156, v154
	v_mov_b32_e32 v157, v135
	v_pk_add_f32 v[138:139], v[156:157], v[138:139]
	v_pk_mul_f32 v[156:157], v[148:149], s[20:21] op_sel_hi:[1,0]
	v_pk_mul_f32 v[162:163], v[112:113], s[30:31] op_sel_hi:[1,0]
	v_pk_fma_f32 v[158:159], v[48:49], s[16:17], v[156:157] op_sel_hi:[1,0,1] neg_lo:[0,0,1] neg_hi:[0,0,1]
	v_pk_fma_f32 v[156:157], v[48:49], s[16:17], v[156:157] op_sel_hi:[1,0,1]
	v_mov_b32_e32 v160, v158
	v_mov_b32_e32 v161, v157
	v_pk_fma_f32 v[164:165], v[46:47], s[12:13], v[162:163] op_sel_hi:[1,0,1] neg_lo:[0,0,1] neg_hi:[0,0,1]
	v_pk_fma_f32 v[162:163], v[46:47], s[12:13], v[162:163] op_sel_hi:[1,0,1]
	v_pk_add_f32 v[160:161], v[36:37], v[160:161]
	v_mov_b32_e32 v166, v164
	v_mov_b32_e32 v167, v163
	v_pk_add_f32 v[160:161], v[166:167], v[160:161]
	v_pk_mul_f32 v[166:167], v[114:115], s[14:15] op_sel_hi:[1,0]
	v_pk_mul_f32 v[112:113], v[112:113], s[34:35] op_sel_hi:[1,0]
	v_pk_fma_f32 v[168:169], v[44:45], s[2:3], v[166:167] op_sel_hi:[1,0,1] neg_lo:[0,0,1] neg_hi:[0,0,1]
	v_pk_fma_f32 v[166:167], v[44:45], s[2:3], v[166:167] op_sel_hi:[1,0,1]
	v_mov_b32_e32 v170, v168
	v_mov_b32_e32 v171, v167
	v_pk_add_f32 v[160:161], v[170:171], v[160:161]
	v_pk_mul_f32 v[170:171], v[116:117], s[24:25] op_sel_hi:[1,0]
	v_pk_mul_f32 v[114:115], v[114:115], s[20:21] op_sel_hi:[1,0]
	v_pk_fma_f32 v[172:173], v[42:43], s[22:23], v[170:171] op_sel_hi:[1,0,1] neg_lo:[0,0,1] neg_hi:[0,0,1]
	v_pk_fma_f32 v[170:171], v[42:43], s[22:23], v[170:171] op_sel_hi:[1,0,1]
	;; [unrolled: 7-line block ×3, first 2 shown]
	v_mov_b32_e32 v178, v176
	v_mov_b32_e32 v179, v175
	v_pk_add_f32 v[160:161], v[178:179], v[160:161]
	ds_write2_b64 v79, v[138:139], v[160:161] offset0:30 offset1:40
	v_pk_mul_f32 v[138:139], v[148:149], s[24:25] op_sel_hi:[1,0]
	v_pk_fma_f32 v[160:161], v[46:47], s[2:3], v[112:113] op_sel_hi:[1,0,1] neg_lo:[0,0,1] neg_hi:[0,0,1]
	v_pk_fma_f32 v[148:149], v[48:49], s[22:23], v[138:139] op_sel_hi:[1,0,1] neg_lo:[0,0,1] neg_hi:[0,0,1]
	v_pk_fma_f32 v[48:49], v[48:49], s[22:23], v[138:139] op_sel_hi:[1,0,1]
	v_mov_b32_e32 v138, v148
	v_mov_b32_e32 v139, v49
	v_pk_fma_f32 v[46:47], v[46:47], s[2:3], v[112:113] op_sel_hi:[1,0,1]
	v_pk_add_f32 v[138:139], v[36:37], v[138:139]
	v_mov_b32_e32 v112, v160
	v_mov_b32_e32 v113, v47
	v_pk_add_f32 v[112:113], v[112:113], v[138:139]
	v_pk_fma_f32 v[138:139], v[44:45], s[16:17], v[114:115] op_sel_hi:[1,0,1] neg_lo:[0,0,1] neg_hi:[0,0,1]
	v_pk_fma_f32 v[44:45], v[44:45], s[16:17], v[114:115] op_sel_hi:[1,0,1]
	v_mov_b32_e32 v114, v138
	v_mov_b32_e32 v115, v45
	;; [unrolled: 1-line block ×3, first 2 shown]
	v_pk_add_f32 v[112:113], v[114:115], v[112:113]
	v_pk_fma_f32 v[114:115], v[42:43], s[10:11], v[116:117] op_sel_hi:[1,0,1] neg_lo:[0,0,1] neg_hi:[0,0,1]
	v_pk_fma_f32 v[42:43], v[42:43], s[10:11], v[116:117] op_sel_hi:[1,0,1]
	v_pk_add_f32 v[48:49], v[36:37], v[48:49]
	v_mov_b32_e32 v47, v161
	v_pk_mul_f32 v[118:119], v[118:119], s[18:19] op_sel_hi:[1,0]
	v_mov_b32_e32 v116, v114
	v_mov_b32_e32 v117, v43
	v_pk_add_f32 v[46:47], v[46:47], v[48:49]
	v_mov_b32_e32 v45, v139
	v_pk_add_f32 v[112:113], v[116:117], v[112:113]
	v_pk_fma_f32 v[116:117], v[50:51], s[12:13], v[118:119] op_sel_hi:[1,0,1] neg_lo:[0,0,1] neg_hi:[0,0,1]
	v_pk_fma_f32 v[50:51], v[50:51], s[12:13], v[118:119] op_sel_hi:[1,0,1]
	v_pk_add_f32 v[44:45], v[44:45], v[46:47]
	v_mov_b32_e32 v43, v115
	v_mov_b32_e32 v118, v116
	;; [unrolled: 1-line block ×3, first 2 shown]
	v_pk_add_f32 v[42:43], v[42:43], v[44:45]
	v_mov_b32_e32 v51, v117
	v_pk_add_f32 v[112:113], v[118:119], v[112:113]
	v_pk_add_f32 v[42:43], v[50:51], v[42:43]
	v_mov_b32_e32 v157, v159
	v_mov_b32_e32 v53, v137
	;; [unrolled: 1-line block ×3, first 2 shown]
	ds_write2_b64 v79, v[112:113], v[42:43] offset0:50 offset1:60
	v_pk_add_f32 v[42:43], v[36:37], v[156:157]
	v_mov_b32_e32 v163, v165
	v_pk_add_f32 v[44:45], v[36:37], v[52:53]
	v_mov_b32_e32 v99, v141
	;; [unrolled: 2-line block ×12, first 2 shown]
	v_pk_add_f32 v[42:43], v[174:175], v[42:43]
	v_pk_add_f32 v[44:45], v[134:135], v[44:45]
	v_pk_add_f32 v[36:37], v[122:123], v[36:37]
	ds_write2_b64 v79, v[42:43], v[44:45] offset0:70 offset1:80
	ds_write2_b64 v79, v[36:37], v[40:41] offset0:90 offset1:100
.LBB0_5:
	s_or_b64 exec, exec, s[26:27]
	s_waitcnt lgkmcnt(0)
	s_barrier
	global_load_dwordx2 v[54:55], v[38:39], off offset:880
	s_add_u32 s2, s8, 0x370
	s_addc_u32 s3, s9, 0
	global_load_dwordx2 v[100:101], v78, s[2:3] offset:440
	global_load_dwordx2 v[102:103], v78, s[2:3] offset:88
	;; [unrolled: 1-line block ×9, first 2 shown]
	ds_read2_b64 v[36:39], v142 offset1:11
	ds_read2_b64 v[42:45], v142 offset0:44 offset1:55
	ds_read2_b64 v[46:49], v142 offset0:66 offset1:77
	ds_read2_b64 v[50:53], v142 offset0:22 offset1:33
	ds_read2_b64 v[96:99], v142 offset0:88 offset1:99
	s_mov_b32 s2, 0x3f737871
	s_mov_b32 s8, 0x3f167918
	;; [unrolled: 1-line block ×3, first 2 shown]
	s_waitcnt vmcnt(6) lgkmcnt(2)
	v_mul_f32_e32 v118, v47, v105
	s_waitcnt vmcnt(5) lgkmcnt(1)
	v_mul_f32_e32 v119, v51, v107
	s_waitcnt vmcnt(4)
	v_mul_f32_e32 v121, v49, v109
	v_mul_f32_e32 v78, v37, v55
	;; [unrolled: 1-line block ×3, first 2 shown]
	v_fma_f32 v78, v36, v54, -v78
	v_fmac_f32_e32 v79, v37, v54
	v_mul_f32_e32 v36, v45, v101
	v_mul_f32_e32 v37, v44, v101
	;; [unrolled: 1-line block ×7, first 2 shown]
	s_waitcnt vmcnt(3)
	v_mul_f32_e32 v122, v53, v111
	v_mul_f32_e32 v107, v52, v111
	s_waitcnt vmcnt(2) lgkmcnt(0)
	v_mul_f32_e32 v123, v97, v113
	v_mul_f32_e32 v109, v96, v113
	s_waitcnt vmcnt(1)
	v_mul_f32_e32 v125, v43, v115
	v_mul_f32_e32 v111, v42, v115
	s_waitcnt vmcnt(0)
	v_mul_f32_e32 v115, v99, v117
	v_mul_f32_e32 v113, v98, v117
	v_fma_f32 v36, v44, v100, -v36
	v_fmac_f32_e32 v37, v45, v100
	v_fma_f32 v54, v38, v102, -v54
	v_fmac_f32_e32 v55, v39, v102
	;; [unrolled: 2-line block ×9, first 2 shown]
	ds_write2_b64 v142, v[78:79], v[54:55] offset1:11
	ds_write2_b64 v142, v[100:101], v[104:105] offset0:66 offset1:77
	ds_write2_b64 v142, v[102:103], v[106:107] offset0:22 offset1:33
	;; [unrolled: 1-line block ×4, first 2 shown]
	s_waitcnt lgkmcnt(0)
	s_barrier
	ds_read2_b64 v[36:39], v142 offset1:11
	ds_read2_b64 v[42:45], v142 offset0:66 offset1:77
	ds_read2_b64 v[46:49], v142 offset0:22 offset1:33
	;; [unrolled: 1-line block ×4, first 2 shown]
	s_waitcnt lgkmcnt(0)
	v_pk_add_f32 v[54:55], v[38:39], v[42:43] neg_lo:[0,1] neg_hi:[0,1]
	v_pk_add_f32 v[44:45], v[46:47], v[44:45] neg_lo:[0,1] neg_hi:[0,1]
	;; [unrolled: 1-line block ×5, first 2 shown]
	v_pk_fma_f32 v[52:53], v[38:39], 2.0, v[54:55] op_sel_hi:[1,0,1] neg_lo:[0,0,1] neg_hi:[0,0,1]
	v_pk_fma_f32 v[42:43], v[46:47], 2.0, v[44:45] op_sel_hi:[1,0,1] neg_lo:[0,0,1] neg_hi:[0,0,1]
	;; [unrolled: 1-line block ×5, first 2 shown]
	s_barrier
	ds_write_b128 v145, v[102:105]
	ds_write_b128 v144, v[52:55]
	;; [unrolled: 1-line block ×5, first 2 shown]
	s_waitcnt lgkmcnt(0)
	s_barrier
	ds_read2_b64 v[42:45], v142 offset0:22 offset1:33
	ds_read2_b64 v[46:49], v142 offset1:11
	ds_read2_b64 v[50:53], v142 offset0:44 offset1:55
	ds_read2_b64 v[96:99], v142 offset0:66 offset1:77
	;; [unrolled: 1-line block ×3, first 2 shown]
	s_waitcnt lgkmcnt(4)
	v_pk_mul_f32 v[36:37], v[94:95], v[42:43]
	s_waitcnt lgkmcnt(0)
	v_pk_fma_f32 v[54:55], v[4:5], v[42:43], v[36:37] op_sel:[0,0,1] op_sel_hi:[1,1,0]
	v_pk_fma_f32 v[4:5], v[4:5], v[42:43], v[36:37] op_sel:[0,0,1] op_sel_hi:[1,1,0] neg_lo:[0,0,1] neg_hi:[0,0,1]
	s_barrier
	v_mov_b32_e32 v55, v5
	v_pk_mul_f32 v[4:5], v[86:87], v[50:51]
	s_nop 0
	v_pk_fma_f32 v[42:43], v[6:7], v[50:51], v[4:5] op_sel:[0,0,1] op_sel_hi:[1,1,0]
	v_pk_fma_f32 v[4:5], v[6:7], v[50:51], v[4:5] op_sel:[0,0,1] op_sel_hi:[1,1,0] neg_lo:[0,0,1] neg_hi:[0,0,1]
	s_nop 0
	v_mov_b32_e32 v43, v5
	v_pk_mul_f32 v[4:5], v[92:93], v[96:97]
	s_nop 0
	v_pk_fma_f32 v[50:51], v[0:1], v[96:97], v[4:5] op_sel:[0,0,1] op_sel_hi:[1,1,0]
	v_pk_fma_f32 v[0:1], v[0:1], v[96:97], v[4:5] op_sel:[0,0,1] op_sel_hi:[1,1,0] neg_lo:[0,0,1] neg_hi:[0,0,1]
	s_nop 0
	v_mov_b32_e32 v51, v1
	v_pk_mul_f32 v[0:1], v[84:85], v[100:101]
	v_pk_add_f32 v[36:37], v[42:43], v[50:51] neg_lo:[0,1] neg_hi:[0,1]
	v_pk_fma_f32 v[78:79], v[2:3], v[100:101], v[0:1] op_sel:[0,0,1] op_sel_hi:[1,1,0]
	v_pk_fma_f32 v[0:1], v[2:3], v[100:101], v[0:1] op_sel:[0,0,1] op_sel_hi:[1,1,0] neg_lo:[0,0,1] neg_hi:[0,0,1]
	v_pk_add_f32 v[2:3], v[54:55], v[42:43] neg_lo:[0,1] neg_hi:[0,1]
	v_mov_b32_e32 v79, v1
	v_pk_add_f32 v[0:1], v[42:43], v[50:51]
	v_pk_add_f32 v[6:7], v[54:55], v[78:79] neg_lo:[0,1] neg_hi:[0,1]
	v_pk_fma_f32 v[0:1], v[0:1], 0.5, v[46:47] op_sel_hi:[1,0,1] neg_lo:[1,0,0] neg_hi:[1,0,0]
	v_pk_add_f32 v[4:5], v[78:79], v[50:51] neg_lo:[0,1] neg_hi:[0,1]
	v_pk_add_f32 v[84:85], v[50:51], v[78:79] neg_lo:[0,1] neg_hi:[0,1]
	v_pk_add_f32 v[4:5], v[2:3], v[4:5]
	v_pk_fma_f32 v[2:3], v[6:7], s[2:3], v[0:1] op_sel:[1,0,0] op_sel_hi:[0,0,1] neg_lo:[1,0,0] neg_hi:[1,0,0]
	v_pk_fma_f32 v[0:1], v[6:7], s[2:3], v[0:1] op_sel:[1,0,0] op_sel_hi:[0,0,1]
	v_pk_fma_f32 v[0:1], v[36:37], s[8:9], v[0:1] op_sel:[1,0,0] op_sel_hi:[0,0,1]
	v_pk_fma_f32 v[38:39], v[36:37], s[8:9], v[2:3] op_sel:[1,0,0] op_sel_hi:[0,0,1] neg_lo:[1,0,0] neg_hi:[1,0,0]
	v_mov_b32_e32 v2, v38
	v_mov_b32_e32 v3, v1
	;; [unrolled: 1-line block ×3, first 2 shown]
	v_pk_fma_f32 v[2:3], v[4:5], s[10:11], v[2:3] op_sel_hi:[1,0,1]
	v_pk_fma_f32 v[4:5], v[4:5], s[10:11], v[0:1] op_sel_hi:[1,0,1]
	v_pk_add_f32 v[0:1], v[54:55], v[78:79]
	v_pk_add_f32 v[38:39], v[42:43], v[54:55] neg_lo:[0,1] neg_hi:[0,1]
	v_pk_fma_f32 v[0:1], v[0:1], 0.5, v[46:47] op_sel_hi:[1,0,1] neg_lo:[1,0,0] neg_hi:[1,0,0]
	v_pk_add_f32 v[38:39], v[38:39], v[84:85]
	v_pk_fma_f32 v[84:85], v[36:37], s[2:3], v[0:1] op_sel:[1,0,0] op_sel_hi:[0,0,1]
	v_pk_fma_f32 v[0:1], v[36:37], s[2:3], v[0:1] op_sel:[1,0,0] op_sel_hi:[0,0,1] neg_lo:[1,0,0] neg_hi:[1,0,0]
	v_pk_fma_f32 v[0:1], v[6:7], s[8:9], v[0:1] op_sel:[1,0,0] op_sel_hi:[0,0,1]
	v_pk_fma_f32 v[6:7], v[6:7], s[8:9], v[84:85] op_sel:[1,0,0] op_sel_hi:[0,0,1] neg_lo:[1,0,0] neg_hi:[1,0,0]
	v_mov_b32_e32 v36, v6
	v_mov_b32_e32 v37, v1
	v_mov_b32_e32 v1, v7
	v_pk_fma_f32 v[36:37], v[38:39], s[10:11], v[36:37] op_sel_hi:[1,0,1]
	v_pk_fma_f32 v[38:39], v[38:39], s[10:11], v[0:1] op_sel_hi:[1,0,1]
	v_pk_mul_f32 v[0:1], v[90:91], v[44:45]
	s_nop 0
	v_pk_fma_f32 v[84:85], v[8:9], v[44:45], v[0:1] op_sel:[0,0,1] op_sel_hi:[1,1,0]
	v_pk_fma_f32 v[0:1], v[8:9], v[44:45], v[0:1] op_sel:[0,0,1] op_sel_hi:[1,1,0] neg_lo:[0,0,1] neg_hi:[0,0,1]
	s_nop 0
	v_mov_b32_e32 v85, v1
	v_pk_mul_f32 v[0:1], v[80:81], v[52:53]
	s_nop 0
	v_pk_fma_f32 v[8:9], v[10:11], v[52:53], v[0:1] op_sel:[0,0,1] op_sel_hi:[1,1,0]
	v_pk_fma_f32 v[0:1], v[10:11], v[52:53], v[0:1] op_sel:[0,0,1] op_sel_hi:[1,1,0] neg_lo:[0,0,1] neg_hi:[0,0,1]
	s_nop 0
	v_mov_b32_e32 v9, v1
	v_pk_mul_f32 v[0:1], v[88:89], v[98:99]
	s_nop 0
	v_pk_fma_f32 v[10:11], v[12:13], v[98:99], v[0:1] op_sel:[0,0,1] op_sel_hi:[1,1,0]
	v_pk_fma_f32 v[0:1], v[12:13], v[98:99], v[0:1] op_sel:[0,0,1] op_sel_hi:[1,1,0] neg_lo:[0,0,1] neg_hi:[0,0,1]
	s_nop 0
	v_mov_b32_e32 v11, v1
	v_pk_mul_f32 v[0:1], v[82:83], v[102:103]
	v_pk_add_f32 v[44:45], v[8:9], v[10:11] neg_lo:[0,1] neg_hi:[0,1]
	v_pk_fma_f32 v[12:13], v[14:15], v[102:103], v[0:1] op_sel:[0,0,1] op_sel_hi:[1,1,0]
	v_pk_fma_f32 v[0:1], v[14:15], v[102:103], v[0:1] op_sel:[0,0,1] op_sel_hi:[1,1,0] neg_lo:[0,0,1] neg_hi:[0,0,1]
	s_nop 0
	v_mov_b32_e32 v13, v1
	v_pk_add_f32 v[6:7], v[84:85], v[12:13]
	v_pk_add_f32 v[14:15], v[10:11], v[12:13] neg_lo:[0,1] neg_hi:[0,1]
	v_pk_fma_f32 v[52:53], v[6:7], 0.5, v[48:49] op_sel_hi:[1,0,1] neg_lo:[1,0,0] neg_hi:[1,0,0]
	v_pk_add_f32 v[6:7], v[8:9], v[84:85] neg_lo:[0,1] neg_hi:[0,1]
	v_pk_add_f32 v[0:1], v[84:85], v[12:13] neg_lo:[0,1] neg_hi:[0,1]
	v_pk_add_f32 v[80:81], v[6:7], v[14:15]
	v_pk_add_f32 v[6:7], v[48:49], v[84:85]
	;; [unrolled: 1-line block ×4, first 2 shown]
	v_pk_fma_f32 v[14:15], v[14:15], 0.5, v[48:49] op_sel_hi:[1,0,1] neg_lo:[1,0,0] neg_hi:[1,0,0]
	v_pk_add_f32 v[6:7], v[6:7], v[10:11]
	v_pk_add_f32 v[8:9], v[84:85], v[8:9] neg_lo:[0,1] neg_hi:[0,1]
	v_pk_add_f32 v[10:11], v[12:13], v[10:11] neg_lo:[0,1] neg_hi:[0,1]
	v_pk_add_f32 v[6:7], v[6:7], v[12:13]
	v_pk_add_f32 v[10:11], v[8:9], v[10:11]
	v_pk_fma_f32 v[8:9], v[0:1], s[2:3], v[14:15] op_sel:[1,0,0] op_sel_hi:[0,0,1] neg_lo:[1,0,0] neg_hi:[1,0,0]
	v_pk_fma_f32 v[12:13], v[0:1], s[2:3], v[14:15] op_sel:[1,0,0] op_sel_hi:[0,0,1]
	v_pk_fma_f32 v[12:13], v[44:45], s[8:9], v[12:13] op_sel:[1,0,0] op_sel_hi:[0,0,1]
	v_pk_fma_f32 v[14:15], v[44:45], s[8:9], v[8:9] op_sel:[1,0,0] op_sel_hi:[0,0,1] neg_lo:[1,0,0] neg_hi:[1,0,0]
	v_mov_b32_e32 v8, v14
	v_mov_b32_e32 v9, v13
	;; [unrolled: 1-line block ×3, first 2 shown]
	v_pk_fma_f32 v[8:9], v[10:11], s[10:11], v[8:9] op_sel_hi:[1,0,1]
	v_pk_fma_f32 v[14:15], v[10:11], s[10:11], v[12:13] op_sel_hi:[1,0,1]
	v_pk_fma_f32 v[10:11], v[44:45], s[2:3], v[52:53] op_sel:[1,0,0] op_sel_hi:[0,0,1]
	v_pk_fma_f32 v[12:13], v[44:45], s[2:3], v[52:53] op_sel:[1,0,0] op_sel_hi:[0,0,1] neg_lo:[1,0,0] neg_hi:[1,0,0]
	v_pk_fma_f32 v[12:13], v[0:1], s[8:9], v[12:13] op_sel:[1,0,0] op_sel_hi:[0,0,1]
	v_pk_fma_f32 v[0:1], v[0:1], s[8:9], v[10:11] op_sel:[1,0,0] op_sel_hi:[0,0,1] neg_lo:[1,0,0] neg_hi:[1,0,0]
	v_mov_b32_e32 v10, v0
	v_mov_b32_e32 v11, v13
	;; [unrolled: 1-line block ×3, first 2 shown]
	v_pk_add_f32 v[0:1], v[46:47], v[54:55]
	v_pk_fma_f32 v[10:11], v[80:81], s[10:11], v[10:11] op_sel_hi:[1,0,1]
	v_pk_add_f32 v[0:1], v[0:1], v[42:43]
	v_pk_fma_f32 v[12:13], v[80:81], s[10:11], v[12:13] op_sel_hi:[1,0,1]
	v_pk_add_f32 v[0:1], v[0:1], v[50:51]
	s_nop 0
	v_pk_add_f32 v[0:1], v[0:1], v[78:79]
	ds_write2_b64 v146, v[0:1], v[2:3] offset1:2
	ds_write2_b64 v146, v[36:37], v[38:39] offset0:4 offset1:6
	ds_write_b64 v146, v[4:5] offset:64
	ds_write2_b64 v147, v[6:7], v[8:9] offset1:2
	ds_write2_b64 v147, v[10:11], v[12:13] offset0:4 offset1:6
	ds_write_b64 v147, v[14:15] offset:64
	s_waitcnt lgkmcnt(0)
	s_barrier
	s_and_saveexec_b64 s[2:3], vcc
	s_cbranch_execz .LBB0_7
; %bb.6:
	ds_read2_b64 v[0:3], v142 offset1:10
	ds_read2_b64 v[36:39], v142 offset0:20 offset1:30
	ds_read2_b64 v[4:7], v142 offset0:40 offset1:50
	;; [unrolled: 1-line block ×4, first 2 shown]
	ds_read_b64 v[40:41], v142 offset:800
.LBB0_7:
	s_or_b64 exec, exec, s[2:3]
	s_and_saveexec_b64 s[2:3], vcc
	s_cbranch_execz .LBB0_9
; %bb.8:
	s_waitcnt lgkmcnt(0)
	v_pk_mul_f32 v[44:45], v[34:35], v[40:41] op_sel:[0,1]
	v_pk_mul_f32 v[48:49], v[32:33], v[14:15] op_sel:[0,1]
	v_pk_fma_f32 v[84:85], v[34:35], v[40:41], v[44:45] op_sel:[0,0,1] op_sel_hi:[1,1,0]
	v_pk_fma_f32 v[34:35], v[34:35], v[40:41], v[44:45] op_sel:[0,0,1] op_sel_hi:[1,0,0] neg_lo:[1,0,0] neg_hi:[1,0,0]
	v_pk_mul_f32 v[46:47], v[18:19], v[36:37] op_sel:[0,1]
	v_mov_b32_e32 v85, v35
	v_pk_fma_f32 v[34:35], v[32:33], v[14:15], v[48:49] op_sel:[0,0,1] op_sel_hi:[1,1,0]
	v_pk_fma_f32 v[14:15], v[32:33], v[14:15], v[48:49] op_sel:[0,0,1] op_sel_hi:[1,0,0] neg_lo:[1,0,0] neg_hi:[1,0,0]
	v_pk_mul_f32 v[52:53], v[30:31], v[12:13] op_sel:[0,1]
	v_mov_b32_e32 v35, v15
	;; [unrolled: 4-line block ×8, first 2 shown]
	v_pk_fma_f32 v[8:9], v[20:21], v[6:7], v[80:81] op_sel:[0,0,1] op_sel_hi:[1,1,0]
	v_pk_fma_f32 v[6:7], v[20:21], v[6:7], v[80:81] op_sel:[0,0,1] op_sel_hi:[1,0,0] neg_lo:[1,0,0] neg_hi:[1,0,0]
	s_mov_b32 s18, 0xbf0a6770
	v_mov_b32_e32 v9, v7
	v_pk_fma_f32 v[6:7], v[16:17], v[2:3], v[42:43] op_sel:[0,0,1] op_sel_hi:[1,1,0]
	v_pk_fma_f32 v[2:3], v[16:17], v[2:3], v[42:43] op_sel:[0,0,1] op_sel_hi:[1,0,0] neg_lo:[1,0,0] neg_hi:[1,0,0]
	v_pk_add_f32 v[36:37], v[8:9], v[4:5] neg_lo:[0,1] neg_hi:[0,1]
	v_mov_b32_e32 v7, v3
	v_pk_add_f32 v[2:3], v[6:7], v[84:85] neg_lo:[0,1] neg_hi:[0,1]
	v_pk_add_f32 v[16:17], v[84:85], v[6:7]
	v_pk_add_f32 v[6:7], v[0:1], v[6:7]
	;; [unrolled: 1-line block ×4, first 2 shown]
	v_pk_add_f32 v[20:21], v[14:15], v[34:35] neg_lo:[0,1] neg_hi:[0,1]
	v_pk_add_f32 v[6:7], v[12:13], v[6:7]
	s_mov_b32 s8, 0x3f575c64
	v_pk_add_f32 v[6:7], v[10:11], v[6:7]
	v_pk_mul_f32 v[40:41], v[2:3], s[18:19] op_sel_hi:[1,0]
	v_pk_add_f32 v[6:7], v[8:9], v[6:7]
	s_mov_b32 s26, 0xbf68dda4
	v_pk_add_f32 v[4:5], v[4:5], v[6:7]
	v_pk_add_f32 v[22:23], v[34:35], v[14:15]
	;; [unrolled: 1-line block ×3, first 2 shown]
	v_pk_fma_f32 v[42:43], v[16:17], s[8:9], v[40:41] op_sel:[0,0,1] op_sel_hi:[1,0,0]
	v_pk_add_f32 v[4:5], v[18:19], v[4:5]
	v_pk_fma_f32 v[40:41], v[16:17], s[8:9], v[40:41] op_sel:[0,0,1] op_sel_hi:[1,0,0] neg_lo:[0,0,1] neg_hi:[0,0,1]
	v_pk_add_f32 v[4:5], v[34:35], v[4:5]
	s_mov_b32 s10, 0x3ed4b147
	v_pk_mul_f32 v[46:47], v[20:21], s[26:27] op_sel_hi:[1,0]
	v_pk_add_f32 v[4:5], v[84:85], v[4:5]
	v_mov_b32_e32 v44, v42
	v_mov_b32_e32 v45, v41
	v_pk_fma_f32 v[48:49], v[22:23], s[10:11], v[46:47] op_sel:[0,0,1] op_sel_hi:[1,0,0]
	v_pk_fma_f32 v[46:47], v[22:23], s[10:11], v[46:47] op_sel:[0,0,1] op_sel_hi:[1,0,0] neg_lo:[0,0,1] neg_hi:[0,0,1]
	ds_write_b64 v142, v[4:5]
	v_pk_mul_f32 v[4:5], v[2:3], s[26:27] op_sel_hi:[1,0]
	v_pk_add_f32 v[26:27], v[12:13], v[18:19] neg_lo:[0,1] neg_hi:[0,1]
	v_pk_add_f32 v[30:31], v[10:11], v[24:25] neg_lo:[0,1] neg_hi:[0,1]
	v_pk_add_f32 v[32:33], v[24:25], v[10:11]
	v_pk_add_f32 v[44:45], v[0:1], v[44:45]
	v_mov_b32_e32 v50, v48
	v_mov_b32_e32 v51, v47
	s_mov_b32 s16, 0xbf7d64f0
	s_mov_b32 s14, 0xbf27a4f4
	v_pk_fma_f32 v[6:7], v[16:17], s[10:11], v[4:5] op_sel:[0,0,1] op_sel_hi:[1,0,0]
	v_pk_fma_f32 v[4:5], v[16:17], s[10:11], v[4:5] op_sel:[0,0,1] op_sel_hi:[1,0,0] neg_lo:[0,0,1] neg_hi:[0,0,1]
	v_pk_mul_f32 v[10:11], v[20:21], s[20:21] op_sel_hi:[1,0]
	v_pk_add_f32 v[28:29], v[18:19], v[12:13]
	v_pk_add_f32 v[44:45], v[50:51], v[44:45]
	v_pk_mul_f32 v[50:51], v[26:27], s[16:17] op_sel_hi:[1,0]
	v_mov_b32_e32 v8, v6
	v_mov_b32_e32 v9, v5
	v_pk_fma_f32 v[12:13], v[22:23], s[14:15], v[10:11] op_sel:[0,0,1] op_sel_hi:[1,0,0]
	v_pk_fma_f32 v[10:11], v[22:23], s[14:15], v[10:11] op_sel:[0,0,1] op_sel_hi:[1,0,0] neg_lo:[0,0,1] neg_hi:[0,0,1]
	v_pk_fma_f32 v[52:53], v[28:29], s[12:13], v[50:51] op_sel:[0,0,1] op_sel_hi:[1,0,0]
	v_pk_fma_f32 v[50:51], v[28:29], s[12:13], v[50:51] op_sel:[0,0,1] op_sel_hi:[1,0,0] neg_lo:[0,0,1] neg_hi:[0,0,1]
	v_pk_add_f32 v[8:9], v[0:1], v[8:9]
	v_mov_b32_e32 v14, v12
	v_mov_b32_e32 v15, v11
	s_mov_b32 s26, 0x3e903f40
	v_mov_b32_e32 v54, v52
	v_mov_b32_e32 v55, v51
	v_pk_add_f32 v[8:9], v[14:15], v[8:9]
	v_pk_mul_f32 v[14:15], v[26:27], s[26:27] op_sel_hi:[1,0]
	v_pk_add_f32 v[44:45], v[54:55], v[44:45]
	v_pk_mul_f32 v[54:55], v[30:31], s[20:21] op_sel_hi:[1,0]
	v_pk_fma_f32 v[18:19], v[28:29], s[22:23], v[14:15] op_sel:[0,0,1] op_sel_hi:[1,0,0]
	v_pk_fma_f32 v[14:15], v[28:29], s[22:23], v[14:15] op_sel:[0,0,1] op_sel_hi:[1,0,0] neg_lo:[0,0,1] neg_hi:[0,0,1]
	v_pk_fma_f32 v[78:79], v[32:33], s[14:15], v[54:55] op_sel:[0,0,1] op_sel_hi:[1,0,0]
	v_pk_fma_f32 v[54:55], v[32:33], s[14:15], v[54:55] op_sel:[0,0,1] op_sel_hi:[1,0,0] neg_lo:[0,0,1] neg_hi:[0,0,1]
	v_mov_b32_e32 v24, v18
	v_mov_b32_e32 v25, v15
	s_mov_b32 s28, 0x3f7d64f0
	v_mov_b32_e32 v80, v78
	v_mov_b32_e32 v81, v55
	v_pk_add_f32 v[8:9], v[24:25], v[8:9]
	v_pk_mul_f32 v[24:25], v[30:31], s[28:29] op_sel_hi:[1,0]
	v_pk_add_f32 v[44:45], v[80:81], v[44:45]
	v_pk_mul_f32 v[80:81], v[36:37], s[24:25] op_sel_hi:[1,0]
	v_pk_fma_f32 v[34:35], v[32:33], s[12:13], v[24:25] op_sel:[0,0,1] op_sel_hi:[1,0,0]
	v_pk_fma_f32 v[24:25], v[32:33], s[12:13], v[24:25] op_sel:[0,0,1] op_sel_hi:[1,0,0] neg_lo:[0,0,1] neg_hi:[0,0,1]
	v_pk_fma_f32 v[82:83], v[38:39], s[22:23], v[80:81] op_sel:[0,0,1] op_sel_hi:[1,0,0]
	v_pk_fma_f32 v[80:81], v[38:39], s[22:23], v[80:81] op_sel:[0,0,1] op_sel_hi:[1,0,0] neg_lo:[0,0,1] neg_hi:[0,0,1]
	v_mov_b32_e32 v84, v34
	v_mov_b32_e32 v85, v25
	s_mov_b32 s30, 0x3f0a6770
	v_mov_b32_e32 v86, v82
	v_mov_b32_e32 v87, v81
	v_pk_add_f32 v[8:9], v[84:85], v[8:9]
	v_pk_mul_f32 v[84:85], v[36:37], s[30:31] op_sel_hi:[1,0]
	v_pk_add_f32 v[44:45], v[86:87], v[44:45]
	v_pk_fma_f32 v[86:87], v[38:39], s[8:9], v[84:85] op_sel:[0,0,1] op_sel_hi:[1,0,0]
	v_pk_fma_f32 v[84:85], v[38:39], s[8:9], v[84:85] op_sel:[0,0,1] op_sel_hi:[1,0,0] neg_lo:[0,0,1] neg_hi:[0,0,1]
	v_mov_b32_e32 v88, v86
	v_mov_b32_e32 v89, v85
	v_lshl_add_u32 v130, v69, 3, v143
	v_pk_add_f32 v[8:9], v[88:89], v[8:9]
	ds_write2_b64 v130, v[44:45], v[8:9] offset0:10 offset1:20
	v_pk_mul_f32 v[8:9], v[2:3], s[16:17] op_sel_hi:[1,0]
	v_pk_mul_f32 v[44:45], v[20:21], s[26:27] op_sel_hi:[1,0]
	v_pk_fma_f32 v[94:95], v[16:17], s[12:13], v[8:9] op_sel:[0,0,1] op_sel_hi:[1,0,0]
	v_pk_fma_f32 v[8:9], v[16:17], s[12:13], v[8:9] op_sel:[0,0,1] op_sel_hi:[1,0,0] neg_lo:[0,0,1] neg_hi:[0,0,1]
	s_mov_b32 s26, 0x3f68dda4
	v_mov_b32_e32 v96, v94
	v_mov_b32_e32 v97, v9
	v_pk_fma_f32 v[98:99], v[22:23], s[22:23], v[44:45] op_sel:[0,0,1] op_sel_hi:[1,0,0]
	v_pk_fma_f32 v[44:45], v[22:23], s[22:23], v[44:45] op_sel:[0,0,1] op_sel_hi:[1,0,0] neg_lo:[0,0,1] neg_hi:[0,0,1]
	v_pk_mul_f32 v[88:89], v[26:27], s[26:27] op_sel_hi:[1,0]
	v_pk_add_f32 v[96:97], v[0:1], v[96:97]
	v_mov_b32_e32 v100, v98
	v_mov_b32_e32 v101, v45
	v_pk_add_f32 v[96:97], v[100:101], v[96:97]
	v_pk_fma_f32 v[100:101], v[28:29], s[10:11], v[88:89] op_sel:[0,0,1] op_sel_hi:[1,0,0]
	v_pk_fma_f32 v[88:89], v[28:29], s[10:11], v[88:89] op_sel:[0,0,1] op_sel_hi:[1,0,0] neg_lo:[0,0,1] neg_hi:[0,0,1]
	v_pk_mul_f32 v[90:91], v[30:31], s[18:19] op_sel_hi:[1,0]
	v_mov_b32_e32 v102, v100
	v_mov_b32_e32 v103, v89
	v_pk_add_f32 v[96:97], v[102:103], v[96:97]
	v_pk_fma_f32 v[102:103], v[32:33], s[8:9], v[90:91] op_sel:[0,0,1] op_sel_hi:[1,0,0]
	v_pk_fma_f32 v[90:91], v[32:33], s[8:9], v[90:91] op_sel:[0,0,1] op_sel_hi:[1,0,0] neg_lo:[0,0,1] neg_hi:[0,0,1]
	v_pk_mul_f32 v[92:93], v[36:37], s[20:21] op_sel_hi:[1,0]
	v_mov_b32_e32 v104, v102
	v_mov_b32_e32 v105, v91
	v_pk_add_f32 v[96:97], v[104:105], v[96:97]
	v_pk_fma_f32 v[104:105], v[38:39], s[14:15], v[92:93] op_sel:[0,0,1] op_sel_hi:[1,0,0]
	v_pk_fma_f32 v[92:93], v[38:39], s[14:15], v[92:93] op_sel:[0,0,1] op_sel_hi:[1,0,0] neg_lo:[0,0,1] neg_hi:[0,0,1]
	v_mov_b32_e32 v106, v104
	v_mov_b32_e32 v107, v93
	v_pk_add_f32 v[96:97], v[106:107], v[96:97]
	v_pk_mul_f32 v[106:107], v[2:3], s[20:21] op_sel_hi:[1,0]
	v_pk_mul_f32 v[112:113], v[20:21], s[28:29] op_sel_hi:[1,0]
	v_pk_fma_f32 v[108:109], v[16:17], s[14:15], v[106:107] op_sel:[0,0,1] op_sel_hi:[1,0,0]
	v_pk_fma_f32 v[106:107], v[16:17], s[14:15], v[106:107] op_sel:[0,0,1] op_sel_hi:[1,0,0] neg_lo:[0,0,1] neg_hi:[0,0,1]
	v_mov_b32_e32 v110, v108
	v_mov_b32_e32 v111, v107
	v_pk_fma_f32 v[114:115], v[22:23], s[12:13], v[112:113] op_sel:[0,0,1] op_sel_hi:[1,0,0]
	v_pk_fma_f32 v[112:113], v[22:23], s[12:13], v[112:113] op_sel:[0,0,1] op_sel_hi:[1,0,0] neg_lo:[0,0,1] neg_hi:[0,0,1]
	v_pk_add_f32 v[110:111], v[0:1], v[110:111]
	v_mov_b32_e32 v116, v114
	v_mov_b32_e32 v117, v113
	v_pk_add_f32 v[110:111], v[116:117], v[110:111]
	v_pk_mul_f32 v[116:117], v[26:27], s[18:19] op_sel_hi:[1,0]
	v_pk_mul_f32 v[2:3], v[2:3], s[24:25] op_sel_hi:[1,0]
	v_pk_fma_f32 v[118:119], v[28:29], s[8:9], v[116:117] op_sel:[0,0,1] op_sel_hi:[1,0,0]
	v_pk_fma_f32 v[116:117], v[28:29], s[8:9], v[116:117] op_sel:[0,0,1] op_sel_hi:[1,0,0] neg_lo:[0,0,1] neg_hi:[0,0,1]
	v_mov_b32_e32 v120, v118
	v_mov_b32_e32 v121, v117
	v_pk_add_f32 v[110:111], v[120:121], v[110:111]
	v_pk_mul_f32 v[120:121], v[30:31], s[24:25] op_sel_hi:[1,0]
	v_pk_mul_f32 v[20:21], v[20:21], s[30:31] op_sel_hi:[1,0]
	v_pk_fma_f32 v[122:123], v[32:33], s[22:23], v[120:121] op_sel:[0,0,1] op_sel_hi:[1,0,0]
	v_pk_fma_f32 v[120:121], v[32:33], s[22:23], v[120:121] op_sel:[0,0,1] op_sel_hi:[1,0,0] neg_lo:[0,0,1] neg_hi:[0,0,1]
	;; [unrolled: 7-line block ×3, first 2 shown]
	v_mov_b32_e32 v128, v126
	v_mov_b32_e32 v129, v125
	v_pk_add_f32 v[110:111], v[128:129], v[110:111]
	ds_write2_b64 v130, v[96:97], v[110:111] offset0:30 offset1:40
	v_pk_fma_f32 v[96:97], v[16:17], s[22:23], v[2:3] op_sel:[0,0,1] op_sel_hi:[1,0,0]
	v_pk_fma_f32 v[2:3], v[16:17], s[22:23], v[2:3] op_sel:[0,0,1] op_sel_hi:[1,0,0] neg_lo:[0,0,1] neg_hi:[0,0,1]
	v_mov_b32_e32 v16, v96
	v_mov_b32_e32 v17, v3
	v_pk_fma_f32 v[110:111], v[22:23], s[8:9], v[20:21] op_sel:[0,0,1] op_sel_hi:[1,0,0]
	v_pk_fma_f32 v[20:21], v[22:23], s[8:9], v[20:21] op_sel:[0,0,1] op_sel_hi:[1,0,0] neg_lo:[0,0,1] neg_hi:[0,0,1]
	v_pk_add_f32 v[16:17], v[0:1], v[16:17]
	v_mov_b32_e32 v22, v110
	v_mov_b32_e32 v23, v21
	v_pk_add_f32 v[16:17], v[22:23], v[16:17]
	v_pk_fma_f32 v[22:23], v[28:29], s[14:15], v[26:27] op_sel:[0,0,1] op_sel_hi:[1,0,0]
	v_pk_fma_f32 v[26:27], v[28:29], s[14:15], v[26:27] op_sel:[0,0,1] op_sel_hi:[1,0,0] neg_lo:[0,0,1] neg_hi:[0,0,1]
	v_pk_mul_f32 v[30:31], v[30:31], s[26:27] op_sel_hi:[1,0]
	v_mov_b32_e32 v28, v22
	v_mov_b32_e32 v29, v27
	;; [unrolled: 1-line block ×3, first 2 shown]
	v_pk_add_f32 v[16:17], v[28:29], v[16:17]
	v_pk_fma_f32 v[28:29], v[32:33], s[10:11], v[30:31] op_sel:[0,0,1] op_sel_hi:[1,0,0]
	v_pk_fma_f32 v[30:31], v[32:33], s[10:11], v[30:31] op_sel:[0,0,1] op_sel_hi:[1,0,0] neg_lo:[0,0,1] neg_hi:[0,0,1]
	v_pk_add_f32 v[2:3], v[0:1], v[2:3]
	v_mov_b32_e32 v21, v111
	v_pk_mul_f32 v[36:37], v[36:37], s[16:17] op_sel_hi:[1,0]
	v_mov_b32_e32 v32, v28
	v_mov_b32_e32 v33, v31
	v_pk_add_f32 v[2:3], v[20:21], v[2:3]
	v_mov_b32_e32 v27, v23
	v_pk_add_f32 v[16:17], v[32:33], v[16:17]
	v_pk_fma_f32 v[32:33], v[38:39], s[12:13], v[36:37] op_sel:[0,0,1] op_sel_hi:[1,0,0]
	v_pk_fma_f32 v[36:37], v[38:39], s[12:13], v[36:37] op_sel:[0,0,1] op_sel_hi:[1,0,0] neg_lo:[0,0,1] neg_hi:[0,0,1]
	v_pk_add_f32 v[2:3], v[26:27], v[2:3]
	v_mov_b32_e32 v31, v29
	v_mov_b32_e32 v38, v32
	;; [unrolled: 1-line block ×3, first 2 shown]
	v_pk_add_f32 v[2:3], v[30:31], v[2:3]
	v_mov_b32_e32 v37, v33
	v_pk_add_f32 v[16:17], v[38:39], v[16:17]
	v_pk_add_f32 v[2:3], v[36:37], v[2:3]
	v_mov_b32_e32 v107, v109
	v_mov_b32_e32 v9, v95
	ds_write2_b64 v130, v[16:17], v[2:3] offset0:50 offset1:60
	v_pk_add_f32 v[2:3], v[0:1], v[106:107]
	v_mov_b32_e32 v113, v115
	v_pk_add_f32 v[8:9], v[0:1], v[8:9]
	v_mov_b32_e32 v45, v99
	;; [unrolled: 2-line block ×8, first 2 shown]
	v_pk_add_f32 v[2:3], v[124:125], v[2:3]
	v_pk_add_f32 v[8:9], v[92:93], v[8:9]
	v_mov_b32_e32 v5, v7
	v_mov_b32_e32 v41, v43
	ds_write2_b64 v130, v[2:3], v[8:9] offset0:70 offset1:80
	v_pk_add_f32 v[2:3], v[0:1], v[4:5]
	v_mov_b32_e32 v11, v13
	v_pk_add_f32 v[0:1], v[0:1], v[40:41]
	v_mov_b32_e32 v47, v49
	;; [unrolled: 2-line block ×8, first 2 shown]
	v_pk_add_f32 v[2:3], v[84:85], v[2:3]
	v_pk_add_f32 v[0:1], v[80:81], v[0:1]
	ds_write2_b64 v130, v[2:3], v[0:1] offset0:90 offset1:100
.LBB0_9:
	s_or_b64 exec, exec, s[2:3]
	s_waitcnt lgkmcnt(0)
	s_barrier
	ds_read2_b64 v[0:3], v142 offset1:11
	v_mov_b32_e32 v8, s0
	v_mov_b32_e32 v9, s1
	v_mad_u64_u32 v[10:11], s[0:1], s6, v68, 0
	v_mov_b32_e32 v4, v11
	v_mad_u64_u32 v[4:5], s[0:1], s7, v68, v[4:5]
	v_mov_b32_e32 v11, v4
	s_waitcnt lgkmcnt(0)
	v_mul_f32_e32 v4, v77, v1
	v_fmac_f32_e32 v4, v76, v0
	v_mul_f32_e32 v0, v77, v0
	s_mov_b32 s0, 0x29e4129e
	v_fma_f32 v0, v76, v1, -v0
	s_mov_b32 s1, 0x3f829e41
	v_cvt_f64_f32_e32 v[0:1], v0
	v_cvt_f64_f32_e32 v[4:5], v4
	v_mul_f64 v[0:1], v[0:1], s[0:1]
	v_mul_f64 v[4:5], v[4:5], s[0:1]
	v_cvt_f32_f64_e32 v13, v[0:1]
	v_mad_u64_u32 v[0:1], s[2:3], s4, v69, 0
	v_cvt_f32_f64_e32 v12, v[4:5]
	v_mov_b32_e32 v4, v1
	v_mad_u64_u32 v[14:15], s[2:3], s5, v69, v[4:5]
	ds_read2_b64 v[4:7], v142 offset0:44 offset1:55
	v_mov_b32_e32 v1, v14
	v_lshl_add_u64 v[8:9], v[10:11], 3, v[8:9]
	v_lshl_add_u64 v[0:1], v[0:1], 3, v[8:9]
	v_mov_b32_e32 v14, 0x1b8
	s_waitcnt lgkmcnt(0)
	v_mul_f32_e32 v8, v75, v7
	v_fmac_f32_e32 v8, v74, v6
	v_mul_f32_e32 v6, v75, v6
	v_fma_f32 v6, v74, v7, -v6
	v_cvt_f64_f32_e32 v[8:9], v8
	v_cvt_f64_f32_e32 v[6:7], v6
	v_mul_f64 v[8:9], v[8:9], s[0:1]
	v_mul_f64 v[6:7], v[6:7], s[0:1]
	v_cvt_f32_f64_e32 v8, v[8:9]
	v_cvt_f32_f64_e32 v9, v[6:7]
	v_mul_f32_e32 v6, v73, v3
	v_fmac_f32_e32 v6, v72, v2
	v_mul_f32_e32 v2, v73, v2
	v_fma_f32 v2, v72, v3, -v2
	global_store_dwordx2 v[0:1], v[12:13], off
	v_mad_u64_u32 v[0:1], s[2:3], s4, v14, v[0:1]
	s_mul_i32 s6, s5, 0x1b8
	v_cvt_f64_f32_e32 v[6:7], v6
	v_cvt_f64_f32_e32 v[2:3], v2
	v_add_u32_e32 v1, s6, v1
	v_mul_f64 v[6:7], v[6:7], s[0:1]
	v_mul_f64 v[2:3], v[2:3], s[0:1]
	v_mov_b32_e32 v15, 0xfffffea0
	global_store_dwordx2 v[0:1], v[8:9], off
	v_cvt_f32_f64_e32 v6, v[6:7]
	v_cvt_f32_f64_e32 v7, v[2:3]
	v_mad_u64_u32 v[10:11], s[2:3], s4, v15, v[0:1]
	ds_read2_b64 v[0:3], v142 offset0:66 offset1:77
	s_mul_i32 s2, s5, 0xfffffea0
	s_sub_i32 s5, s2, s4
	v_add_u32_e32 v11, s5, v11
	global_store_dwordx2 v[10:11], v[6:7], off
	s_waitcnt lgkmcnt(0)
	v_mul_f32_e32 v6, v71, v1
	v_fmac_f32_e32 v6, v70, v0
	v_cvt_f64_f32_e32 v[6:7], v6
	v_mul_f64 v[6:7], v[6:7], s[0:1]
	v_cvt_f32_f64_e32 v12, v[6:7]
	ds_read2_b64 v[6:9], v142 offset0:22 offset1:33
	v_mul_f32_e32 v0, v71, v0
	v_fma_f32 v0, v70, v1, -v0
	v_cvt_f64_f32_e32 v[0:1], v0
	v_mul_f64 v[0:1], v[0:1], s[0:1]
	v_cvt_f32_f64_e32 v13, v[0:1]
	v_mad_u64_u32 v[0:1], s[2:3], s4, v14, v[10:11]
	s_waitcnt lgkmcnt(0)
	v_mul_f32_e32 v10, v67, v7
	v_fmac_f32_e32 v10, v66, v6
	v_mul_f32_e32 v6, v67, v6
	v_fma_f32 v6, v66, v7, -v6
	v_cvt_f64_f32_e32 v[10:11], v10
	v_cvt_f64_f32_e32 v[6:7], v6
	v_add_u32_e32 v1, s6, v1
	v_mul_f64 v[10:11], v[10:11], s[0:1]
	v_mul_f64 v[6:7], v[6:7], s[0:1]
	global_store_dwordx2 v[0:1], v[12:13], off
	v_cvt_f32_f64_e32 v10, v[10:11]
	v_cvt_f32_f64_e32 v11, v[6:7]
	v_mad_u64_u32 v[0:1], s[2:3], s4, v15, v[0:1]
	v_mul_f32_e32 v6, v65, v3
	v_add_u32_e32 v1, s5, v1
	v_fmac_f32_e32 v6, v64, v2
	v_mul_f32_e32 v2, v65, v2
	global_store_dwordx2 v[0:1], v[10:11], off
	v_fma_f32 v2, v64, v3, -v2
	v_mad_u64_u32 v[10:11], s[2:3], s4, v14, v[0:1]
	v_mul_f32_e32 v0, v63, v9
	v_cvt_f64_f32_e32 v[6:7], v6
	v_cvt_f64_f32_e32 v[2:3], v2
	v_fmac_f32_e32 v0, v62, v8
	v_mul_f64 v[6:7], v[6:7], s[0:1]
	v_mul_f64 v[2:3], v[2:3], s[0:1]
	v_cvt_f64_f32_e32 v[0:1], v0
	v_cvt_f32_f64_e32 v6, v[6:7]
	v_cvt_f32_f64_e32 v7, v[2:3]
	v_add_u32_e32 v11, s6, v11
	v_mul_f64 v[0:1], v[0:1], s[0:1]
	global_store_dwordx2 v[10:11], v[6:7], off
	v_cvt_f32_f64_e32 v6, v[0:1]
	v_mul_f32_e32 v0, v63, v8
	v_fma_f32 v0, v62, v9, -v0
	v_cvt_f64_f32_e32 v[0:1], v0
	v_mul_f64 v[0:1], v[0:1], s[0:1]
	v_cvt_f32_f64_e32 v7, v[0:1]
	ds_read2_b64 v[0:3], v142 offset0:88 offset1:99
	v_mad_u64_u32 v[8:9], s[2:3], s4, v15, v[10:11]
	v_add_u32_e32 v9, s5, v9
	global_store_dwordx2 v[8:9], v[6:7], off
	s_waitcnt lgkmcnt(0)
	v_mul_f32_e32 v6, v61, v1
	v_fmac_f32_e32 v6, v60, v0
	v_mul_f32_e32 v0, v61, v0
	v_fma_f32 v0, v60, v1, -v0
	v_cvt_f64_f32_e32 v[6:7], v6
	v_cvt_f64_f32_e32 v[0:1], v0
	v_mul_f64 v[6:7], v[6:7], s[0:1]
	v_mul_f64 v[0:1], v[0:1], s[0:1]
	v_cvt_f32_f64_e32 v6, v[6:7]
	v_cvt_f32_f64_e32 v7, v[0:1]
	v_mad_u64_u32 v[0:1], s[2:3], s4, v14, v[8:9]
	v_add_u32_e32 v1, s6, v1
	global_store_dwordx2 v[0:1], v[6:7], off
	v_mul_f32_e32 v6, v59, v5
	v_fmac_f32_e32 v6, v58, v4
	v_mul_f32_e32 v4, v59, v4
	v_fma_f32 v4, v58, v5, -v4
	v_cvt_f64_f32_e32 v[6:7], v6
	v_cvt_f64_f32_e32 v[4:5], v4
	v_mul_f64 v[6:7], v[6:7], s[0:1]
	v_mul_f64 v[4:5], v[4:5], s[0:1]
	v_cvt_f32_f64_e32 v6, v[6:7]
	v_cvt_f32_f64_e32 v7, v[4:5]
	v_mul_f32_e32 v4, v57, v3
	v_fmac_f32_e32 v4, v56, v2
	v_mul_f32_e32 v2, v57, v2
	v_mad_u64_u32 v[0:1], s[2:3], s4, v15, v[0:1]
	v_fma_f32 v2, v56, v3, -v2
	v_add_u32_e32 v1, s5, v1
	v_cvt_f64_f32_e32 v[4:5], v4
	v_cvt_f64_f32_e32 v[2:3], v2
	global_store_dwordx2 v[0:1], v[6:7], off
	v_mul_f64 v[4:5], v[4:5], s[0:1]
	v_mul_f64 v[2:3], v[2:3], s[0:1]
	v_mad_u64_u32 v[0:1], s[0:1], s4, v14, v[0:1]
	v_cvt_f32_f64_e32 v4, v[4:5]
	v_cvt_f32_f64_e32 v5, v[2:3]
	v_add_u32_e32 v1, s6, v1
	global_store_dwordx2 v[0:1], v[4:5], off
.LBB0_10:
	s_endpgm
	.section	.rodata,"a",@progbits
	.p2align	6, 0x0
	.amdhsa_kernel bluestein_single_fwd_len110_dim1_sp_op_CI_CI
		.amdhsa_group_segment_fixed_size 15840
		.amdhsa_private_segment_fixed_size 0
		.amdhsa_kernarg_size 104
		.amdhsa_user_sgpr_count 2
		.amdhsa_user_sgpr_dispatch_ptr 0
		.amdhsa_user_sgpr_queue_ptr 0
		.amdhsa_user_sgpr_kernarg_segment_ptr 1
		.amdhsa_user_sgpr_dispatch_id 0
		.amdhsa_user_sgpr_kernarg_preload_length 0
		.amdhsa_user_sgpr_kernarg_preload_offset 0
		.amdhsa_user_sgpr_private_segment_size 0
		.amdhsa_uses_dynamic_stack 0
		.amdhsa_enable_private_segment 0
		.amdhsa_system_sgpr_workgroup_id_x 1
		.amdhsa_system_sgpr_workgroup_id_y 0
		.amdhsa_system_sgpr_workgroup_id_z 0
		.amdhsa_system_sgpr_workgroup_info 0
		.amdhsa_system_vgpr_workitem_id 0
		.amdhsa_next_free_vgpr 180
		.amdhsa_next_free_sgpr 36
		.amdhsa_accum_offset 180
		.amdhsa_reserve_vcc 1
		.amdhsa_float_round_mode_32 0
		.amdhsa_float_round_mode_16_64 0
		.amdhsa_float_denorm_mode_32 3
		.amdhsa_float_denorm_mode_16_64 3
		.amdhsa_dx10_clamp 1
		.amdhsa_ieee_mode 1
		.amdhsa_fp16_overflow 0
		.amdhsa_tg_split 0
		.amdhsa_exception_fp_ieee_invalid_op 0
		.amdhsa_exception_fp_denorm_src 0
		.amdhsa_exception_fp_ieee_div_zero 0
		.amdhsa_exception_fp_ieee_overflow 0
		.amdhsa_exception_fp_ieee_underflow 0
		.amdhsa_exception_fp_ieee_inexact 0
		.amdhsa_exception_int_div_zero 0
	.end_amdhsa_kernel
	.text
.Lfunc_end0:
	.size	bluestein_single_fwd_len110_dim1_sp_op_CI_CI, .Lfunc_end0-bluestein_single_fwd_len110_dim1_sp_op_CI_CI
                                        ; -- End function
	.section	.AMDGPU.csdata,"",@progbits
; Kernel info:
; codeLenInByte = 8624
; NumSgprs: 42
; NumVgprs: 180
; NumAgprs: 0
; TotalNumVgprs: 180
; ScratchSize: 0
; MemoryBound: 0
; FloatMode: 240
; IeeeMode: 1
; LDSByteSize: 15840 bytes/workgroup (compile time only)
; SGPRBlocks: 5
; VGPRBlocks: 22
; NumSGPRsForWavesPerEU: 42
; NumVGPRsForWavesPerEU: 180
; AccumOffset: 180
; Occupancy: 2
; WaveLimiterHint : 1
; COMPUTE_PGM_RSRC2:SCRATCH_EN: 0
; COMPUTE_PGM_RSRC2:USER_SGPR: 2
; COMPUTE_PGM_RSRC2:TRAP_HANDLER: 0
; COMPUTE_PGM_RSRC2:TGID_X_EN: 1
; COMPUTE_PGM_RSRC2:TGID_Y_EN: 0
; COMPUTE_PGM_RSRC2:TGID_Z_EN: 0
; COMPUTE_PGM_RSRC2:TIDIG_COMP_CNT: 0
; COMPUTE_PGM_RSRC3_GFX90A:ACCUM_OFFSET: 44
; COMPUTE_PGM_RSRC3_GFX90A:TG_SPLIT: 0
	.text
	.p2alignl 6, 3212836864
	.fill 256, 4, 3212836864
	.type	__hip_cuid_9b33b0c00eef62de,@object ; @__hip_cuid_9b33b0c00eef62de
	.section	.bss,"aw",@nobits
	.globl	__hip_cuid_9b33b0c00eef62de
__hip_cuid_9b33b0c00eef62de:
	.byte	0                               ; 0x0
	.size	__hip_cuid_9b33b0c00eef62de, 1

	.ident	"AMD clang version 19.0.0git (https://github.com/RadeonOpenCompute/llvm-project roc-6.4.0 25133 c7fe45cf4b819c5991fe208aaa96edf142730f1d)"
	.section	".note.GNU-stack","",@progbits
	.addrsig
	.addrsig_sym __hip_cuid_9b33b0c00eef62de
	.amdgpu_metadata
---
amdhsa.kernels:
  - .agpr_count:     0
    .args:
      - .actual_access:  read_only
        .address_space:  global
        .offset:         0
        .size:           8
        .value_kind:     global_buffer
      - .actual_access:  read_only
        .address_space:  global
        .offset:         8
        .size:           8
        .value_kind:     global_buffer
      - .actual_access:  read_only
        .address_space:  global
        .offset:         16
        .size:           8
        .value_kind:     global_buffer
      - .actual_access:  read_only
        .address_space:  global
        .offset:         24
        .size:           8
        .value_kind:     global_buffer
      - .actual_access:  read_only
        .address_space:  global
        .offset:         32
        .size:           8
        .value_kind:     global_buffer
      - .offset:         40
        .size:           8
        .value_kind:     by_value
      - .address_space:  global
        .offset:         48
        .size:           8
        .value_kind:     global_buffer
      - .address_space:  global
        .offset:         56
        .size:           8
        .value_kind:     global_buffer
      - .address_space:  global
        .offset:         64
        .size:           8
        .value_kind:     global_buffer
      - .address_space:  global
        .offset:         72
        .size:           8
        .value_kind:     global_buffer
      - .offset:         80
        .size:           4
        .value_kind:     by_value
      - .address_space:  global
        .offset:         88
        .size:           8
        .value_kind:     global_buffer
      - .address_space:  global
        .offset:         96
        .size:           8
        .value_kind:     global_buffer
    .group_segment_fixed_size: 15840
    .kernarg_segment_align: 8
    .kernarg_segment_size: 104
    .language:       OpenCL C
    .language_version:
      - 2
      - 0
    .max_flat_workgroup_size: 198
    .name:           bluestein_single_fwd_len110_dim1_sp_op_CI_CI
    .private_segment_fixed_size: 0
    .sgpr_count:     42
    .sgpr_spill_count: 0
    .symbol:         bluestein_single_fwd_len110_dim1_sp_op_CI_CI.kd
    .uniform_work_group_size: 1
    .uses_dynamic_stack: false
    .vgpr_count:     180
    .vgpr_spill_count: 0
    .wavefront_size: 64
amdhsa.target:   amdgcn-amd-amdhsa--gfx950
amdhsa.version:
  - 1
  - 2
...

	.end_amdgpu_metadata
